;; amdgpu-corpus repo=ROCm/composable_kernel kind=compiled arch=gfx906 opt=O3
	.amdgcn_target "amdgcn-amd-amdhsa--gfx906"
	.amdhsa_code_object_version 6
	.section	.text._ZN2ckL12flush_icacheEv,"axG",@progbits,_ZN2ckL12flush_icacheEv,comdat
	.globl	_ZN2ckL12flush_icacheEv         ; -- Begin function _ZN2ckL12flush_icacheEv
	.p2align	8
	.type	_ZN2ckL12flush_icacheEv,@function
_ZN2ckL12flush_icacheEv:                ; @_ZN2ckL12flush_icacheEv
; %bb.0:
	;;#ASMSTART
	s_icache_inv 
	s_nop 0 
	s_nop 0 
	;; [unrolled: 1-line block ×16, first 2 shown]
	
	;;#ASMEND
	s_endpgm
	.section	.rodata,"a",@progbits
	.p2align	6, 0x0
	.amdhsa_kernel _ZN2ckL12flush_icacheEv
		.amdhsa_group_segment_fixed_size 0
		.amdhsa_private_segment_fixed_size 0
		.amdhsa_kernarg_size 0
		.amdhsa_user_sgpr_count 4
		.amdhsa_user_sgpr_private_segment_buffer 1
		.amdhsa_user_sgpr_dispatch_ptr 0
		.amdhsa_user_sgpr_queue_ptr 0
		.amdhsa_user_sgpr_kernarg_segment_ptr 0
		.amdhsa_user_sgpr_dispatch_id 0
		.amdhsa_user_sgpr_flat_scratch_init 0
		.amdhsa_user_sgpr_private_segment_size 0
		.amdhsa_uses_dynamic_stack 0
		.amdhsa_system_sgpr_private_segment_wavefront_offset 0
		.amdhsa_system_sgpr_workgroup_id_x 1
		.amdhsa_system_sgpr_workgroup_id_y 0
		.amdhsa_system_sgpr_workgroup_id_z 0
		.amdhsa_system_sgpr_workgroup_info 0
		.amdhsa_system_vgpr_workitem_id 0
		.amdhsa_next_free_vgpr 1
		.amdhsa_next_free_sgpr 0
		.amdhsa_reserve_vcc 0
		.amdhsa_reserve_flat_scratch 0
		.amdhsa_float_round_mode_32 0
		.amdhsa_float_round_mode_16_64 0
		.amdhsa_float_denorm_mode_32 3
		.amdhsa_float_denorm_mode_16_64 3
		.amdhsa_dx10_clamp 1
		.amdhsa_ieee_mode 1
		.amdhsa_fp16_overflow 0
		.amdhsa_exception_fp_ieee_invalid_op 0
		.amdhsa_exception_fp_denorm_src 0
		.amdhsa_exception_fp_ieee_div_zero 0
		.amdhsa_exception_fp_ieee_overflow 0
		.amdhsa_exception_fp_ieee_underflow 0
		.amdhsa_exception_fp_ieee_inexact 0
		.amdhsa_exception_int_div_zero 0
	.end_amdhsa_kernel
	.section	.text._ZN2ckL12flush_icacheEv,"axG",@progbits,_ZN2ckL12flush_icacheEv,comdat
.Lfunc_end0:
	.size	_ZN2ckL12flush_icacheEv, .Lfunc_end0-_ZN2ckL12flush_icacheEv
                                        ; -- End function
	.set _ZN2ckL12flush_icacheEv.num_vgpr, 0
	.set _ZN2ckL12flush_icacheEv.num_agpr, 0
	.set _ZN2ckL12flush_icacheEv.numbered_sgpr, 0
	.set _ZN2ckL12flush_icacheEv.num_named_barrier, 0
	.set _ZN2ckL12flush_icacheEv.private_seg_size, 0
	.set _ZN2ckL12flush_icacheEv.uses_vcc, 0
	.set _ZN2ckL12flush_icacheEv.uses_flat_scratch, 0
	.set _ZN2ckL12flush_icacheEv.has_dyn_sized_stack, 0
	.set _ZN2ckL12flush_icacheEv.has_recursion, 0
	.set _ZN2ckL12flush_icacheEv.has_indirect_call, 0
	.section	.AMDGPU.csdata,"",@progbits
; Kernel info:
; codeLenInByte = 140
; TotalNumSgprs: 4
; NumVgprs: 0
; ScratchSize: 0
; MemoryBound: 0
; FloatMode: 240
; IeeeMode: 1
; LDSByteSize: 0 bytes/workgroup (compile time only)
; SGPRBlocks: 0
; VGPRBlocks: 0
; NumSGPRsForWavesPerEU: 4
; NumVGPRsForWavesPerEU: 1
; Occupancy: 10
; WaveLimiterHint : 0
; COMPUTE_PGM_RSRC2:SCRATCH_EN: 0
; COMPUTE_PGM_RSRC2:USER_SGPR: 4
; COMPUTE_PGM_RSRC2:TRAP_HANDLER: 0
; COMPUTE_PGM_RSRC2:TGID_X_EN: 1
; COMPUTE_PGM_RSRC2:TGID_Y_EN: 0
; COMPUTE_PGM_RSRC2:TGID_Z_EN: 0
; COMPUTE_PGM_RSRC2:TIDIG_COMP_CNT: 0
	.section	.text._ZN2ck16tensor_operation6device12_GLOBAL__N_137kernel_grouped_conv_fwd_dl_multiple_dINS_32GridwiseGemmDlMultipleD_km_kn_mnILi256EDF16_fNS_5TupleIJDF16_EEEDF16_NS0_12element_wise11PassThroughES8_NS7_7AddReluELNS_25InMemoryDataOperationEnumE0ENS_16TensorDescriptorINS5_IJNS_5EmbedINS5_IJiiiEEESD_Lb0EEENS_11PassThroughIiEENS_3PadIiiiLb0EEESG_SG_NSC_INS5_IJiiEEESJ_Lb0EEESG_NS_23Merge_v2_magic_divisionISJ_EESM_NS_8RightPadIiiLb0EEESO_NS_7UnMergeISJ_Lb0EEESG_EEENS5_IJNS_8SequenceIJLi0EEEENSS_IJLi1EEEENSS_IJLi2EEEENSS_IJLi3EEEENSS_IJLi4EEEENSS_IJLi5EEEENSS_IJLi6EEEENSS_IJLi7ELi9EEEENSS_IJLi8ELi10EEEENSS_IJLi11EEEENSS_IJLi12EEEENSS_IJLi14EEEENSS_IJLi13EEEEEEENS5_IJNSS_IJLi1ELi2ELi3EEEESX_SY_SZ_NSS_IJLi7EEEENSS_IJLi8ELi9EEEENSS_IJLi10EEEES12_S13_S15_S14_NSS_IJLi15ELi16EEEENSS_IJLi17EEEEEEENSS_IJLi15ELi17ELi16EEEElEENSB_INS5_IJSQ_SO_SO_SQ_SG_EEENS5_IJST_SU_SV_SX_SW_EEENS5_IJNSS_IJLi1ELi2EEEESW_SX_NSS_IJLi5ELi6EEEES18_EEENSS_IJLi5ELi7ELi6EEEElEENSB_INS5_IJSK_SO_SO_EEENS5_IJST_SU_SV_EEENS5_IJS1I_SW_SX_EEENSS_IJLi3ELi4EEEElEELi128ELi128ELi16ELi2ELi4ELi4ELi1ENSS_IJLi8ELi2EEEES1S_NSS_IJLi8ELi1ELi1ELi2EEEENSS_IJLi2ELi1ELi128ELi1EEEENSS_IJLi1ELi2ELi0ELi3EEEES1V_NSS_IJLi4ELi1ELi1ELi2EEEES1V_NSS_IJLi1ELi1ELi1ELi2EEEES1T_S1U_S1V_S1V_S1W_S1V_S1X_NSS_IJLi0ELi1ELi2ELi3ELi4ELi5EEEELi5ELi4EEEDF16_NS5_IJPKDF16_EEEDF16_S8_S8_S9_NSB_INS5_IJSE_SG_SI_SG_SG_SK_SG_SM_SM_SO_SO_SQ_SG_SG_NSP_INS5_IJiNS_17integral_constantIiLi128EEEEEELb0EEENSF_INS23_IiLi2EEEEEEEENS5_IJST_SU_SV_SW_SX_SY_SZ_S10_S11_S12_S13_S14_S15_NSS_IJLi15EEEES1C_NSS_IJLi16EEEEEEENS5_IJS17_SX_SY_SZ_S18_S19_S1A_S12_S13_S15_S14_S1B_S1C_NSS_IJLi18EEEENSS_IJLi19ELi20EEEENSS_IJLi21EEEEEEENSS_IJLi18ELi19ELi20ELi21EEEElEENSB_INS5_IJSQ_SO_SO_SQ_SG_SG_S26_S28_EEENS5_IJST_SU_SV_SX_SW_SY_S18_SZ_EEENS5_IJS1I_SW_SX_S1J_S18_NSS_IJLi8EEEENSS_IJLi9ELi10EEEES12_EEENSS_IJLi8ELi9ELi10ELi11EEEElEENS5_IJNSB_INS5_IJSK_SO_SO_NSP_INS5_IJiS27_NS23_IiLi64EEEEEELb0EEES2S_EEENS5_IJST_SU_SV_SW_SX_EEENS5_IJS1I_SW_SX_NSS_IJLi5ELi6ELi7EEEENSS_IJLi8ELi9ELi10EEEEEEENSS_IJLi5ELi6ELi7ELi8ELi9ELi10EEEElEEEEES2Z_NS_31BlockToCTileMap_M00_N00_M01_N01ILi128ELi128ES1R_Lb0EEENS1_30ComputePtrOffsetOfStridedBatchILi1ELi1ELi1EvEELb1ELb1EEEvPKT0_S37_T1_PT2_T3_T4_T5_iT6_T7_T8_T9_T10_T11_,"axG",@progbits,_ZN2ck16tensor_operation6device12_GLOBAL__N_137kernel_grouped_conv_fwd_dl_multiple_dINS_32GridwiseGemmDlMultipleD_km_kn_mnILi256EDF16_fNS_5TupleIJDF16_EEEDF16_NS0_12element_wise11PassThroughES8_NS7_7AddReluELNS_25InMemoryDataOperationEnumE0ENS_16TensorDescriptorINS5_IJNS_5EmbedINS5_IJiiiEEESD_Lb0EEENS_11PassThroughIiEENS_3PadIiiiLb0EEESG_SG_NSC_INS5_IJiiEEESJ_Lb0EEESG_NS_23Merge_v2_magic_divisionISJ_EESM_NS_8RightPadIiiLb0EEESO_NS_7UnMergeISJ_Lb0EEESG_EEENS5_IJNS_8SequenceIJLi0EEEENSS_IJLi1EEEENSS_IJLi2EEEENSS_IJLi3EEEENSS_IJLi4EEEENSS_IJLi5EEEENSS_IJLi6EEEENSS_IJLi7ELi9EEEENSS_IJLi8ELi10EEEENSS_IJLi11EEEENSS_IJLi12EEEENSS_IJLi14EEEENSS_IJLi13EEEEEEENS5_IJNSS_IJLi1ELi2ELi3EEEESX_SY_SZ_NSS_IJLi7EEEENSS_IJLi8ELi9EEEENSS_IJLi10EEEES12_S13_S15_S14_NSS_IJLi15ELi16EEEENSS_IJLi17EEEEEEENSS_IJLi15ELi17ELi16EEEElEENSB_INS5_IJSQ_SO_SO_SQ_SG_EEENS5_IJST_SU_SV_SX_SW_EEENS5_IJNSS_IJLi1ELi2EEEESW_SX_NSS_IJLi5ELi6EEEES18_EEENSS_IJLi5ELi7ELi6EEEElEENSB_INS5_IJSK_SO_SO_EEENS5_IJST_SU_SV_EEENS5_IJS1I_SW_SX_EEENSS_IJLi3ELi4EEEElEELi128ELi128ELi16ELi2ELi4ELi4ELi1ENSS_IJLi8ELi2EEEES1S_NSS_IJLi8ELi1ELi1ELi2EEEENSS_IJLi2ELi1ELi128ELi1EEEENSS_IJLi1ELi2ELi0ELi3EEEES1V_NSS_IJLi4ELi1ELi1ELi2EEEES1V_NSS_IJLi1ELi1ELi1ELi2EEEES1T_S1U_S1V_S1V_S1W_S1V_S1X_NSS_IJLi0ELi1ELi2ELi3ELi4ELi5EEEELi5ELi4EEEDF16_NS5_IJPKDF16_EEEDF16_S8_S8_S9_NSB_INS5_IJSE_SG_SI_SG_SG_SK_SG_SM_SM_SO_SO_SQ_SG_SG_NSP_INS5_IJiNS_17integral_constantIiLi128EEEEEELb0EEENSF_INS23_IiLi2EEEEEEEENS5_IJST_SU_SV_SW_SX_SY_SZ_S10_S11_S12_S13_S14_S15_NSS_IJLi15EEEES1C_NSS_IJLi16EEEEEEENS5_IJS17_SX_SY_SZ_S18_S19_S1A_S12_S13_S15_S14_S1B_S1C_NSS_IJLi18EEEENSS_IJLi19ELi20EEEENSS_IJLi21EEEEEEENSS_IJLi18ELi19ELi20ELi21EEEElEENSB_INS5_IJSQ_SO_SO_SQ_SG_SG_S26_S28_EEENS5_IJST_SU_SV_SX_SW_SY_S18_SZ_EEENS5_IJS1I_SW_SX_S1J_S18_NSS_IJLi8EEEENSS_IJLi9ELi10EEEES12_EEENSS_IJLi8ELi9ELi10ELi11EEEElEENS5_IJNSB_INS5_IJSK_SO_SO_NSP_INS5_IJiS27_NS23_IiLi64EEEEEELb0EEES2S_EEENS5_IJST_SU_SV_SW_SX_EEENS5_IJS1I_SW_SX_NSS_IJLi5ELi6ELi7EEEENSS_IJLi8ELi9ELi10EEEEEEENSS_IJLi5ELi6ELi7ELi8ELi9ELi10EEEElEEEEES2Z_NS_31BlockToCTileMap_M00_N00_M01_N01ILi128ELi128ES1R_Lb0EEENS1_30ComputePtrOffsetOfStridedBatchILi1ELi1ELi1EvEELb1ELb1EEEvPKT0_S37_T1_PT2_T3_T4_T5_iT6_T7_T8_T9_T10_T11_,comdat
	.globl	_ZN2ck16tensor_operation6device12_GLOBAL__N_137kernel_grouped_conv_fwd_dl_multiple_dINS_32GridwiseGemmDlMultipleD_km_kn_mnILi256EDF16_fNS_5TupleIJDF16_EEEDF16_NS0_12element_wise11PassThroughES8_NS7_7AddReluELNS_25InMemoryDataOperationEnumE0ENS_16TensorDescriptorINS5_IJNS_5EmbedINS5_IJiiiEEESD_Lb0EEENS_11PassThroughIiEENS_3PadIiiiLb0EEESG_SG_NSC_INS5_IJiiEEESJ_Lb0EEESG_NS_23Merge_v2_magic_divisionISJ_EESM_NS_8RightPadIiiLb0EEESO_NS_7UnMergeISJ_Lb0EEESG_EEENS5_IJNS_8SequenceIJLi0EEEENSS_IJLi1EEEENSS_IJLi2EEEENSS_IJLi3EEEENSS_IJLi4EEEENSS_IJLi5EEEENSS_IJLi6EEEENSS_IJLi7ELi9EEEENSS_IJLi8ELi10EEEENSS_IJLi11EEEENSS_IJLi12EEEENSS_IJLi14EEEENSS_IJLi13EEEEEEENS5_IJNSS_IJLi1ELi2ELi3EEEESX_SY_SZ_NSS_IJLi7EEEENSS_IJLi8ELi9EEEENSS_IJLi10EEEES12_S13_S15_S14_NSS_IJLi15ELi16EEEENSS_IJLi17EEEEEEENSS_IJLi15ELi17ELi16EEEElEENSB_INS5_IJSQ_SO_SO_SQ_SG_EEENS5_IJST_SU_SV_SX_SW_EEENS5_IJNSS_IJLi1ELi2EEEESW_SX_NSS_IJLi5ELi6EEEES18_EEENSS_IJLi5ELi7ELi6EEEElEENSB_INS5_IJSK_SO_SO_EEENS5_IJST_SU_SV_EEENS5_IJS1I_SW_SX_EEENSS_IJLi3ELi4EEEElEELi128ELi128ELi16ELi2ELi4ELi4ELi1ENSS_IJLi8ELi2EEEES1S_NSS_IJLi8ELi1ELi1ELi2EEEENSS_IJLi2ELi1ELi128ELi1EEEENSS_IJLi1ELi2ELi0ELi3EEEES1V_NSS_IJLi4ELi1ELi1ELi2EEEES1V_NSS_IJLi1ELi1ELi1ELi2EEEES1T_S1U_S1V_S1V_S1W_S1V_S1X_NSS_IJLi0ELi1ELi2ELi3ELi4ELi5EEEELi5ELi4EEEDF16_NS5_IJPKDF16_EEEDF16_S8_S8_S9_NSB_INS5_IJSE_SG_SI_SG_SG_SK_SG_SM_SM_SO_SO_SQ_SG_SG_NSP_INS5_IJiNS_17integral_constantIiLi128EEEEEELb0EEENSF_INS23_IiLi2EEEEEEEENS5_IJST_SU_SV_SW_SX_SY_SZ_S10_S11_S12_S13_S14_S15_NSS_IJLi15EEEES1C_NSS_IJLi16EEEEEEENS5_IJS17_SX_SY_SZ_S18_S19_S1A_S12_S13_S15_S14_S1B_S1C_NSS_IJLi18EEEENSS_IJLi19ELi20EEEENSS_IJLi21EEEEEEENSS_IJLi18ELi19ELi20ELi21EEEElEENSB_INS5_IJSQ_SO_SO_SQ_SG_SG_S26_S28_EEENS5_IJST_SU_SV_SX_SW_SY_S18_SZ_EEENS5_IJS1I_SW_SX_S1J_S18_NSS_IJLi8EEEENSS_IJLi9ELi10EEEES12_EEENSS_IJLi8ELi9ELi10ELi11EEEElEENS5_IJNSB_INS5_IJSK_SO_SO_NSP_INS5_IJiS27_NS23_IiLi64EEEEEELb0EEES2S_EEENS5_IJST_SU_SV_SW_SX_EEENS5_IJS1I_SW_SX_NSS_IJLi5ELi6ELi7EEEENSS_IJLi8ELi9ELi10EEEEEEENSS_IJLi5ELi6ELi7ELi8ELi9ELi10EEEElEEEEES2Z_NS_31BlockToCTileMap_M00_N00_M01_N01ILi128ELi128ES1R_Lb0EEENS1_30ComputePtrOffsetOfStridedBatchILi1ELi1ELi1EvEELb1ELb1EEEvPKT0_S37_T1_PT2_T3_T4_T5_iT6_T7_T8_T9_T10_T11_ ; -- Begin function _ZN2ck16tensor_operation6device12_GLOBAL__N_137kernel_grouped_conv_fwd_dl_multiple_dINS_32GridwiseGemmDlMultipleD_km_kn_mnILi256EDF16_fNS_5TupleIJDF16_EEEDF16_NS0_12element_wise11PassThroughES8_NS7_7AddReluELNS_25InMemoryDataOperationEnumE0ENS_16TensorDescriptorINS5_IJNS_5EmbedINS5_IJiiiEEESD_Lb0EEENS_11PassThroughIiEENS_3PadIiiiLb0EEESG_SG_NSC_INS5_IJiiEEESJ_Lb0EEESG_NS_23Merge_v2_magic_divisionISJ_EESM_NS_8RightPadIiiLb0EEESO_NS_7UnMergeISJ_Lb0EEESG_EEENS5_IJNS_8SequenceIJLi0EEEENSS_IJLi1EEEENSS_IJLi2EEEENSS_IJLi3EEEENSS_IJLi4EEEENSS_IJLi5EEEENSS_IJLi6EEEENSS_IJLi7ELi9EEEENSS_IJLi8ELi10EEEENSS_IJLi11EEEENSS_IJLi12EEEENSS_IJLi14EEEENSS_IJLi13EEEEEEENS5_IJNSS_IJLi1ELi2ELi3EEEESX_SY_SZ_NSS_IJLi7EEEENSS_IJLi8ELi9EEEENSS_IJLi10EEEES12_S13_S15_S14_NSS_IJLi15ELi16EEEENSS_IJLi17EEEEEEENSS_IJLi15ELi17ELi16EEEElEENSB_INS5_IJSQ_SO_SO_SQ_SG_EEENS5_IJST_SU_SV_SX_SW_EEENS5_IJNSS_IJLi1ELi2EEEESW_SX_NSS_IJLi5ELi6EEEES18_EEENSS_IJLi5ELi7ELi6EEEElEENSB_INS5_IJSK_SO_SO_EEENS5_IJST_SU_SV_EEENS5_IJS1I_SW_SX_EEENSS_IJLi3ELi4EEEElEELi128ELi128ELi16ELi2ELi4ELi4ELi1ENSS_IJLi8ELi2EEEES1S_NSS_IJLi8ELi1ELi1ELi2EEEENSS_IJLi2ELi1ELi128ELi1EEEENSS_IJLi1ELi2ELi0ELi3EEEES1V_NSS_IJLi4ELi1ELi1ELi2EEEES1V_NSS_IJLi1ELi1ELi1ELi2EEEES1T_S1U_S1V_S1V_S1W_S1V_S1X_NSS_IJLi0ELi1ELi2ELi3ELi4ELi5EEEELi5ELi4EEEDF16_NS5_IJPKDF16_EEEDF16_S8_S8_S9_NSB_INS5_IJSE_SG_SI_SG_SG_SK_SG_SM_SM_SO_SO_SQ_SG_SG_NSP_INS5_IJiNS_17integral_constantIiLi128EEEEEELb0EEENSF_INS23_IiLi2EEEEEEEENS5_IJST_SU_SV_SW_SX_SY_SZ_S10_S11_S12_S13_S14_S15_NSS_IJLi15EEEES1C_NSS_IJLi16EEEEEEENS5_IJS17_SX_SY_SZ_S18_S19_S1A_S12_S13_S15_S14_S1B_S1C_NSS_IJLi18EEEENSS_IJLi19ELi20EEEENSS_IJLi21EEEEEEENSS_IJLi18ELi19ELi20ELi21EEEElEENSB_INS5_IJSQ_SO_SO_SQ_SG_SG_S26_S28_EEENS5_IJST_SU_SV_SX_SW_SY_S18_SZ_EEENS5_IJS1I_SW_SX_S1J_S18_NSS_IJLi8EEEENSS_IJLi9ELi10EEEES12_EEENSS_IJLi8ELi9ELi10ELi11EEEElEENS5_IJNSB_INS5_IJSK_SO_SO_NSP_INS5_IJiS27_NS23_IiLi64EEEEEELb0EEES2S_EEENS5_IJST_SU_SV_SW_SX_EEENS5_IJS1I_SW_SX_NSS_IJLi5ELi6ELi7EEEENSS_IJLi8ELi9ELi10EEEEEEENSS_IJLi5ELi6ELi7ELi8ELi9ELi10EEEElEEEEES2Z_NS_31BlockToCTileMap_M00_N00_M01_N01ILi128ELi128ES1R_Lb0EEENS1_30ComputePtrOffsetOfStridedBatchILi1ELi1ELi1EvEELb1ELb1EEEvPKT0_S37_T1_PT2_T3_T4_T5_iT6_T7_T8_T9_T10_T11_
	.p2align	8
	.type	_ZN2ck16tensor_operation6device12_GLOBAL__N_137kernel_grouped_conv_fwd_dl_multiple_dINS_32GridwiseGemmDlMultipleD_km_kn_mnILi256EDF16_fNS_5TupleIJDF16_EEEDF16_NS0_12element_wise11PassThroughES8_NS7_7AddReluELNS_25InMemoryDataOperationEnumE0ENS_16TensorDescriptorINS5_IJNS_5EmbedINS5_IJiiiEEESD_Lb0EEENS_11PassThroughIiEENS_3PadIiiiLb0EEESG_SG_NSC_INS5_IJiiEEESJ_Lb0EEESG_NS_23Merge_v2_magic_divisionISJ_EESM_NS_8RightPadIiiLb0EEESO_NS_7UnMergeISJ_Lb0EEESG_EEENS5_IJNS_8SequenceIJLi0EEEENSS_IJLi1EEEENSS_IJLi2EEEENSS_IJLi3EEEENSS_IJLi4EEEENSS_IJLi5EEEENSS_IJLi6EEEENSS_IJLi7ELi9EEEENSS_IJLi8ELi10EEEENSS_IJLi11EEEENSS_IJLi12EEEENSS_IJLi14EEEENSS_IJLi13EEEEEEENS5_IJNSS_IJLi1ELi2ELi3EEEESX_SY_SZ_NSS_IJLi7EEEENSS_IJLi8ELi9EEEENSS_IJLi10EEEES12_S13_S15_S14_NSS_IJLi15ELi16EEEENSS_IJLi17EEEEEEENSS_IJLi15ELi17ELi16EEEElEENSB_INS5_IJSQ_SO_SO_SQ_SG_EEENS5_IJST_SU_SV_SX_SW_EEENS5_IJNSS_IJLi1ELi2EEEESW_SX_NSS_IJLi5ELi6EEEES18_EEENSS_IJLi5ELi7ELi6EEEElEENSB_INS5_IJSK_SO_SO_EEENS5_IJST_SU_SV_EEENS5_IJS1I_SW_SX_EEENSS_IJLi3ELi4EEEElEELi128ELi128ELi16ELi2ELi4ELi4ELi1ENSS_IJLi8ELi2EEEES1S_NSS_IJLi8ELi1ELi1ELi2EEEENSS_IJLi2ELi1ELi128ELi1EEEENSS_IJLi1ELi2ELi0ELi3EEEES1V_NSS_IJLi4ELi1ELi1ELi2EEEES1V_NSS_IJLi1ELi1ELi1ELi2EEEES1T_S1U_S1V_S1V_S1W_S1V_S1X_NSS_IJLi0ELi1ELi2ELi3ELi4ELi5EEEELi5ELi4EEEDF16_NS5_IJPKDF16_EEEDF16_S8_S8_S9_NSB_INS5_IJSE_SG_SI_SG_SG_SK_SG_SM_SM_SO_SO_SQ_SG_SG_NSP_INS5_IJiNS_17integral_constantIiLi128EEEEEELb0EEENSF_INS23_IiLi2EEEEEEEENS5_IJST_SU_SV_SW_SX_SY_SZ_S10_S11_S12_S13_S14_S15_NSS_IJLi15EEEES1C_NSS_IJLi16EEEEEEENS5_IJS17_SX_SY_SZ_S18_S19_S1A_S12_S13_S15_S14_S1B_S1C_NSS_IJLi18EEEENSS_IJLi19ELi20EEEENSS_IJLi21EEEEEEENSS_IJLi18ELi19ELi20ELi21EEEElEENSB_INS5_IJSQ_SO_SO_SQ_SG_SG_S26_S28_EEENS5_IJST_SU_SV_SX_SW_SY_S18_SZ_EEENS5_IJS1I_SW_SX_S1J_S18_NSS_IJLi8EEEENSS_IJLi9ELi10EEEES12_EEENSS_IJLi8ELi9ELi10ELi11EEEElEENS5_IJNSB_INS5_IJSK_SO_SO_NSP_INS5_IJiS27_NS23_IiLi64EEEEEELb0EEES2S_EEENS5_IJST_SU_SV_SW_SX_EEENS5_IJS1I_SW_SX_NSS_IJLi5ELi6ELi7EEEENSS_IJLi8ELi9ELi10EEEEEEENSS_IJLi5ELi6ELi7ELi8ELi9ELi10EEEElEEEEES2Z_NS_31BlockToCTileMap_M00_N00_M01_N01ILi128ELi128ES1R_Lb0EEENS1_30ComputePtrOffsetOfStridedBatchILi1ELi1ELi1EvEELb1ELb1EEEvPKT0_S37_T1_PT2_T3_T4_T5_iT6_T7_T8_T9_T10_T11_,@function
_ZN2ck16tensor_operation6device12_GLOBAL__N_137kernel_grouped_conv_fwd_dl_multiple_dINS_32GridwiseGemmDlMultipleD_km_kn_mnILi256EDF16_fNS_5TupleIJDF16_EEEDF16_NS0_12element_wise11PassThroughES8_NS7_7AddReluELNS_25InMemoryDataOperationEnumE0ENS_16TensorDescriptorINS5_IJNS_5EmbedINS5_IJiiiEEESD_Lb0EEENS_11PassThroughIiEENS_3PadIiiiLb0EEESG_SG_NSC_INS5_IJiiEEESJ_Lb0EEESG_NS_23Merge_v2_magic_divisionISJ_EESM_NS_8RightPadIiiLb0EEESO_NS_7UnMergeISJ_Lb0EEESG_EEENS5_IJNS_8SequenceIJLi0EEEENSS_IJLi1EEEENSS_IJLi2EEEENSS_IJLi3EEEENSS_IJLi4EEEENSS_IJLi5EEEENSS_IJLi6EEEENSS_IJLi7ELi9EEEENSS_IJLi8ELi10EEEENSS_IJLi11EEEENSS_IJLi12EEEENSS_IJLi14EEEENSS_IJLi13EEEEEEENS5_IJNSS_IJLi1ELi2ELi3EEEESX_SY_SZ_NSS_IJLi7EEEENSS_IJLi8ELi9EEEENSS_IJLi10EEEES12_S13_S15_S14_NSS_IJLi15ELi16EEEENSS_IJLi17EEEEEEENSS_IJLi15ELi17ELi16EEEElEENSB_INS5_IJSQ_SO_SO_SQ_SG_EEENS5_IJST_SU_SV_SX_SW_EEENS5_IJNSS_IJLi1ELi2EEEESW_SX_NSS_IJLi5ELi6EEEES18_EEENSS_IJLi5ELi7ELi6EEEElEENSB_INS5_IJSK_SO_SO_EEENS5_IJST_SU_SV_EEENS5_IJS1I_SW_SX_EEENSS_IJLi3ELi4EEEElEELi128ELi128ELi16ELi2ELi4ELi4ELi1ENSS_IJLi8ELi2EEEES1S_NSS_IJLi8ELi1ELi1ELi2EEEENSS_IJLi2ELi1ELi128ELi1EEEENSS_IJLi1ELi2ELi0ELi3EEEES1V_NSS_IJLi4ELi1ELi1ELi2EEEES1V_NSS_IJLi1ELi1ELi1ELi2EEEES1T_S1U_S1V_S1V_S1W_S1V_S1X_NSS_IJLi0ELi1ELi2ELi3ELi4ELi5EEEELi5ELi4EEEDF16_NS5_IJPKDF16_EEEDF16_S8_S8_S9_NSB_INS5_IJSE_SG_SI_SG_SG_SK_SG_SM_SM_SO_SO_SQ_SG_SG_NSP_INS5_IJiNS_17integral_constantIiLi128EEEEEELb0EEENSF_INS23_IiLi2EEEEEEEENS5_IJST_SU_SV_SW_SX_SY_SZ_S10_S11_S12_S13_S14_S15_NSS_IJLi15EEEES1C_NSS_IJLi16EEEEEEENS5_IJS17_SX_SY_SZ_S18_S19_S1A_S12_S13_S15_S14_S1B_S1C_NSS_IJLi18EEEENSS_IJLi19ELi20EEEENSS_IJLi21EEEEEEENSS_IJLi18ELi19ELi20ELi21EEEElEENSB_INS5_IJSQ_SO_SO_SQ_SG_SG_S26_S28_EEENS5_IJST_SU_SV_SX_SW_SY_S18_SZ_EEENS5_IJS1I_SW_SX_S1J_S18_NSS_IJLi8EEEENSS_IJLi9ELi10EEEES12_EEENSS_IJLi8ELi9ELi10ELi11EEEElEENS5_IJNSB_INS5_IJSK_SO_SO_NSP_INS5_IJiS27_NS23_IiLi64EEEEEELb0EEES2S_EEENS5_IJST_SU_SV_SW_SX_EEENS5_IJS1I_SW_SX_NSS_IJLi5ELi6ELi7EEEENSS_IJLi8ELi9ELi10EEEEEEENSS_IJLi5ELi6ELi7ELi8ELi9ELi10EEEElEEEEES2Z_NS_31BlockToCTileMap_M00_N00_M01_N01ILi128ELi128ES1R_Lb0EEENS1_30ComputePtrOffsetOfStridedBatchILi1ELi1ELi1EvEELb1ELb1EEEvPKT0_S37_T1_PT2_T3_T4_T5_iT6_T7_T8_T9_T10_T11_: ; @_ZN2ck16tensor_operation6device12_GLOBAL__N_137kernel_grouped_conv_fwd_dl_multiple_dINS_32GridwiseGemmDlMultipleD_km_kn_mnILi256EDF16_fNS_5TupleIJDF16_EEEDF16_NS0_12element_wise11PassThroughES8_NS7_7AddReluELNS_25InMemoryDataOperationEnumE0ENS_16TensorDescriptorINS5_IJNS_5EmbedINS5_IJiiiEEESD_Lb0EEENS_11PassThroughIiEENS_3PadIiiiLb0EEESG_SG_NSC_INS5_IJiiEEESJ_Lb0EEESG_NS_23Merge_v2_magic_divisionISJ_EESM_NS_8RightPadIiiLb0EEESO_NS_7UnMergeISJ_Lb0EEESG_EEENS5_IJNS_8SequenceIJLi0EEEENSS_IJLi1EEEENSS_IJLi2EEEENSS_IJLi3EEEENSS_IJLi4EEEENSS_IJLi5EEEENSS_IJLi6EEEENSS_IJLi7ELi9EEEENSS_IJLi8ELi10EEEENSS_IJLi11EEEENSS_IJLi12EEEENSS_IJLi14EEEENSS_IJLi13EEEEEEENS5_IJNSS_IJLi1ELi2ELi3EEEESX_SY_SZ_NSS_IJLi7EEEENSS_IJLi8ELi9EEEENSS_IJLi10EEEES12_S13_S15_S14_NSS_IJLi15ELi16EEEENSS_IJLi17EEEEEEENSS_IJLi15ELi17ELi16EEEElEENSB_INS5_IJSQ_SO_SO_SQ_SG_EEENS5_IJST_SU_SV_SX_SW_EEENS5_IJNSS_IJLi1ELi2EEEESW_SX_NSS_IJLi5ELi6EEEES18_EEENSS_IJLi5ELi7ELi6EEEElEENSB_INS5_IJSK_SO_SO_EEENS5_IJST_SU_SV_EEENS5_IJS1I_SW_SX_EEENSS_IJLi3ELi4EEEElEELi128ELi128ELi16ELi2ELi4ELi4ELi1ENSS_IJLi8ELi2EEEES1S_NSS_IJLi8ELi1ELi1ELi2EEEENSS_IJLi2ELi1ELi128ELi1EEEENSS_IJLi1ELi2ELi0ELi3EEEES1V_NSS_IJLi4ELi1ELi1ELi2EEEES1V_NSS_IJLi1ELi1ELi1ELi2EEEES1T_S1U_S1V_S1V_S1W_S1V_S1X_NSS_IJLi0ELi1ELi2ELi3ELi4ELi5EEEELi5ELi4EEEDF16_NS5_IJPKDF16_EEEDF16_S8_S8_S9_NSB_INS5_IJSE_SG_SI_SG_SG_SK_SG_SM_SM_SO_SO_SQ_SG_SG_NSP_INS5_IJiNS_17integral_constantIiLi128EEEEEELb0EEENSF_INS23_IiLi2EEEEEEEENS5_IJST_SU_SV_SW_SX_SY_SZ_S10_S11_S12_S13_S14_S15_NSS_IJLi15EEEES1C_NSS_IJLi16EEEEEEENS5_IJS17_SX_SY_SZ_S18_S19_S1A_S12_S13_S15_S14_S1B_S1C_NSS_IJLi18EEEENSS_IJLi19ELi20EEEENSS_IJLi21EEEEEEENSS_IJLi18ELi19ELi20ELi21EEEElEENSB_INS5_IJSQ_SO_SO_SQ_SG_SG_S26_S28_EEENS5_IJST_SU_SV_SX_SW_SY_S18_SZ_EEENS5_IJS1I_SW_SX_S1J_S18_NSS_IJLi8EEEENSS_IJLi9ELi10EEEES12_EEENSS_IJLi8ELi9ELi10ELi11EEEElEENS5_IJNSB_INS5_IJSK_SO_SO_NSP_INS5_IJiS27_NS23_IiLi64EEEEEELb0EEES2S_EEENS5_IJST_SU_SV_SW_SX_EEENS5_IJS1I_SW_SX_NSS_IJLi5ELi6ELi7EEEENSS_IJLi8ELi9ELi10EEEEEEENSS_IJLi5ELi6ELi7ELi8ELi9ELi10EEEElEEEEES2Z_NS_31BlockToCTileMap_M00_N00_M01_N01ILi128ELi128ES1R_Lb0EEENS1_30ComputePtrOffsetOfStridedBatchILi1ELi1ELi1EvEELb1ELb1EEEvPKT0_S37_T1_PT2_T3_T4_T5_iT6_T7_T8_T9_T10_T11_
; %bb.0:
	s_mov_b64 s[62:63], s[2:3]
	s_mov_b64 s[60:61], s[0:1]
	s_load_dword s8, s[4:5], 0x24
	s_load_dwordx4 s[0:3], s[4:5], 0x0
	s_load_dwordx2 s[46:47], s[4:5], 0x18
	s_load_dwordx8 s[12:19], s[4:5], 0x34
	s_add_u32 s60, s60, s7
	s_addc_u32 s61, s61, 0
	s_waitcnt lgkmcnt(0)
	s_abs_i32 s9, s8
	v_cvt_f32_u32_e32 v1, s9
	s_load_dword s48, s[4:5], 0x48
	s_load_dwordx2 s[44:45], s[4:5], 0x60
	s_load_dword s15, s[4:5], 0x70
	s_load_dword s17, s[4:5], 0x78
	;; [unrolled: 1-line block ×7, first 2 shown]
	s_sub_i32 s11, 0, s9
	s_load_dword s59, s[4:5], 0xc4
	s_load_dword s55, s[4:5], 0xd0
	;; [unrolled: 1-line block ×6, first 2 shown]
	v_rcp_iflag_f32_e32 v1, v1
	v_lshrrev_b32_e32 v21, 1, v0
	s_waitcnt lgkmcnt(0)
	s_xor_b32 s8, s10, s8
	s_abs_i32 s10, s10
	v_mul_f32_e32 v1, 0x4f7ffffe, v1
	v_cvt_u32_f32_e32 v1, v1
	s_ashr_i32 s8, s8, 31
	v_lshrrev_b32_e32 v25, 5, v0
	v_lshlrev_b32_e32 v27, 1, v0
	v_readfirstlane_b32 s19, v1
	s_mul_i32 s11, s11, s19
	s_mul_hi_u32 s11, s19, s11
	s_add_i32 s19, s19, s11
	s_mul_hi_u32 s11, s10, s19
	s_mul_i32 s19, s11, s9
	s_sub_i32 s10, s10, s19
	s_add_i32 s19, s11, 1
	s_sub_i32 s20, s10, s9
	s_cmp_ge_u32 s10, s9
	s_cselect_b32 s11, s19, s11
	s_cselect_b32 s10, s20, s10
	s_add_i32 s19, s11, 1
	s_cmp_ge_u32 s10, s9
	s_cselect_b32 s9, s19, s11
	s_xor_b32 s9, s9, s8
	s_sub_i32 s19, s9, s8
	s_abs_i32 s28, s19
	v_cvt_f32_u32_e32 v1, s28
	s_sub_i32 s53, 0, s28
	s_abs_i32 s35, s6
	s_xor_b32 s19, s6, s19
	v_rcp_iflag_f32_e32 v1, v1
	s_ashr_i32 s19, s19, 31
	s_load_dword s33, s[4:5], 0x204
	s_load_dword s34, s[4:5], 0x214
	s_load_dwordx4 s[8:11], s[4:5], 0x220
	s_load_dwordx4 s[40:43], s[4:5], 0x234
	;; [unrolled: 1-line block ×3, first 2 shown]
	s_load_dwordx8 s[20:27], s[4:5], 0x260
	v_mul_f32_e32 v1, 0x4f7ffffe, v1
	v_cvt_u32_f32_e32 v1, v1
	v_lshlrev_b32_e32 v26, 6, v25
	v_and_b32_e32 v28, 0x1f8, v27
	v_sub_u32_e32 v26, v28, v26
	v_readfirstlane_b32 s54, v1
	s_mul_i32 s53, s53, s54
	s_mul_hi_u32 s53, s54, s53
	s_add_i32 s54, s54, s53
	s_mul_hi_u32 s53, s35, s54
	s_mul_i32 s54, s53, s28
	s_sub_i32 s35, s35, s54
	s_add_i32 s54, s53, 1
	s_sub_i32 s56, s35, s28
	s_cmp_ge_u32 s35, s28
	s_cselect_b32 s53, s54, s53
	s_cselect_b32 s35, s56, s35
	s_add_i32 s54, s53, 1
	s_cmp_ge_u32 s35, s28
	s_cselect_b32 s28, s54, s53
	s_xor_b32 s28, s28, s19
	s_sub_i32 s53, s28, s19
	s_ashr_i32 s54, s53, 31
	s_waitcnt lgkmcnt(0)
	s_mul_i32 s19, s20, s54
	s_mul_hi_u32 s28, s20, s53
	s_add_i32 s19, s28, s19
	s_mul_i32 s21, s21, s53
	s_add_i32 s21, s19, s21
	s_mul_i32 s19, s22, s54
	s_mul_hi_u32 s28, s22, s53
	s_mul_i32 s20, s20, s53
	s_add_i32 s19, s28, s19
	s_mul_i32 s23, s23, s53
	s_add_i32 s23, s19, s23
	s_lshl_b64 s[20:21], s[20:21], 1
	s_mul_i32 s22, s22, s53
	s_add_u32 s20, s0, s20
	s_addc_u32 s21, s1, s21
	s_lshl_b64 s[0:1], s[22:23], 1
	s_add_u32 s28, s2, s0
	s_mul_hi_u32 s0, s43, s6
	s_addc_u32 s2, s3, s1
	s_add_i32 s0, s6, s0
	s_lshr_b32 s3, s0, s39
	s_mul_hi_u32 s0, s3, s42
	s_add_i32 s0, s3, s0
	s_lshr_b32 s22, s0, s38
	s_mul_i32 s0, s22, s10
	s_sub_i32 s42, s3, s0
	s_mul_hi_u32 s0, s22, s41
	s_add_i32 s0, s22, s0
	s_lshr_b32 s10, s0, s37
	s_mul_hi_u32 s0, s10, s40
	s_add_i32 s0, s10, s0
	s_lshr_b32 s0, s0, s36
	s_mul_i32 s0, s0, s8
	v_lshlrev_b32_e32 v1, 3, v0
	s_sub_i32 s0, s10, s0
	v_and_b32_e32 v19, 8, v1
	s_mul_i32 s0, s0, s33
	v_mul_lo_u32 v20, s59, v19
	s_add_i32 s42, s42, s0
	v_lshl_or_b32 v22, s42, 7, v21
	v_mul_hi_u32 v2, v22, s17
	v_mul_hi_u32 v1, v20, s52
	s_mul_i32 s10, s10, s9
	s_mul_i32 s3, s3, s11
	v_add_u32_e32 v2, v22, v2
	v_add_u32_e32 v1, v20, v1
	v_lshrrev_b32_e32 v2, s29, v2
	v_mul_lo_u32 v3, v2, s15
	v_lshrrev_b32_e32 v5, s51, v1
	v_mul_lo_u32 v1, v5, s44
	v_mul_lo_u32 v4, v5, s50
	v_sub_u32_e32 v3, v22, v3
	s_sub_i32 s43, s6, s3
	v_mad_u64_u32 v[17:18], s[0:1], v3, s45, v[1:2]
	s_lshl_b32 s45, s59, 2
	v_add_u32_e32 v29, s45, v20
	v_mul_hi_u32 v8, v29, s52
	v_sub_u32_e32 v6, v20, v4
	v_subrev_u32_e32 v1, s48, v17
	v_mul_lo_u32 v2, v2, s12
	v_add_u32_e32 v8, v29, v8
	v_lshrrev_b32_e32 v39, s51, v8
	v_mul_lo_u32 v8, v39, s50
	v_sub_u32_e32 v5, v39, v5
	v_mul_lo_u32 v1, v1, s13
	v_mul_lo_u32 v3, v6, s14
	;; [unrolled: 1-line block ×3, first 2 shown]
	s_sub_i32 s0, s22, s10
	v_sub_u32_e32 v31, v29, v8
	s_mul_i32 s0, s0, s34
	v_sub_u32_e32 v5, v31, v6
	v_add3_u32 v7, v2, v3, v1
	s_add_i32 s43, s43, s0
	v_mul_lo_u32 v6, v18, s13
	v_mul_lo_u32 v5, v5, s14
	s_load_dword s56, s[4:5], 0x120
	s_load_dword s8, s[4:5], 0x148
	s_load_dwordx2 s[38:39], s[4:5], 0x158
	s_load_dword s17, s[4:5], 0x164
	s_load_dword s19, s[4:5], 0x170
	s_lshl_b32 s22, s31, 1
	s_and_b32 s21, s21, 0xffff
	s_mov_b32 s23, 0x20000
	v_lshlrev_b32_e32 v1, 1, v7
	v_lshl_or_b32 v23, s43, 7, v21
	buffer_load_dwordx4 v[1:4], v1, s[20:23], 0 offen
	s_waitcnt lgkmcnt(0)
	v_mul_lo_u32 v24, s56, v19
	v_mul_lo_u32 v30, v23, s7
	v_add3_u32 v34, v5, v6, v7
	v_lshlrev_b32_e32 v5, 1, v34
	buffer_load_dwordx4 v[5:8], v5, s[20:23], 0 offen
	v_add_u32_e32 v13, v30, v24
	s_and_b32 s29, s2, 0xffff
	s_lshl_b32 s10, s8, 1
	s_mov_b32 s8, s28
	s_mov_b32 s9, s29
	;; [unrolled: 1-line block ×3, first 2 shown]
	v_lshlrev_b32_e32 v9, 1, v13
	buffer_load_dwordx4 v[9:12], v9, s[8:11], 0 offen
	s_lshl_b32 s12, s56, 2
	v_add_lshl_u32 v13, v13, s12, 1
	buffer_load_dwordx4 v[13:16], v13, s[8:11], 0 offen
	s_load_dword s2, s[4:5], 0xa8
	s_load_dword s11, s[4:5], 0xb4
	s_load_dwordx2 s[36:37], s[4:5], 0x1e8
	s_sub_i32 s18, s16, s18
	v_cmp_gt_i32_e64 s[6:7], s18, v17
	s_waitcnt lgkmcnt(0)
	v_cmp_gt_i32_e32 vcc, s2, v22
	v_cmp_gt_i32_e64 s[0:1], s11, v20
	v_cmp_le_i32_e64 s[2:3], s48, v17
	s_and_b64 s[0:1], s[6:7], s[0:1]
	v_lshlrev_b32_e32 v0, 2, v0
	s_and_b64 s[0:1], s[0:1], s[2:3]
	v_and_or_b32 v26, v0, 4, v26
	v_lshlrev_b32_e32 v0, 3, v25
	s_and_b64 s[0:1], vcc, s[0:1]
	v_add_u32_e32 v37, v17, v18
	v_and_or_b32 v25, v27, 4, v0
	v_cmp_gt_i32_e64 s[6:7], s18, v37
	v_cmp_le_i32_e64 s[2:3], s48, v37
	s_load_dwordx2 s[40:41], s[4:5], 0x198
	s_load_dwordx2 s[34:35], s[4:5], 0x1a8
	s_load_dword s15, s[4:5], 0x1b4
	s_load_dword s33, s[4:5], 0x1c0
	s_mov_b32 s37, 0
	s_mov_b32 s31, s23
	s_sub_i32 s16, s55, 32
	s_waitcnt lgkmcnt(0)
	s_mul_i32 s41, s59, 12
	s_lshl_b32 s55, s56, 5
	s_lshl_b32 s57, s59, 5
	s_sub_i32 s58, 0, s50
	v_mov_b32_e32 v63, 0
	v_mov_b32_e32 v59, 0
	v_mov_b32_e32 v60, 0
	v_mov_b32_e32 v61, 0
	v_mov_b32_e32 v62, 0
	v_mov_b32_e32 v70, 0
	v_mov_b32_e32 v72, 0
	v_mov_b32_e32 v74, 0
	v_mov_b32_e32 v75, 0
	v_mov_b32_e32 v64, 0
	v_mov_b32_e32 v65, 0
	v_mov_b32_e32 v66, 0
	v_mov_b32_e32 v67, 0
	v_mov_b32_e32 v76, 0
	v_mov_b32_e32 v77, 0
	v_mov_b32_e32 v78, 0
	v_mov_b32_e32 v79, 0
	v_mov_b32_e32 v68, 0
	v_mov_b32_e32 v69, 0
	v_mov_b32_e32 v71, 0
	v_mov_b32_e32 v73, 0
	v_mov_b32_e32 v80, 0
	v_mov_b32_e32 v81, 0
	v_mov_b32_e32 v82, 0
	v_mov_b32_e32 v83, 0
	v_mov_b32_e32 v88, 0
	v_mov_b32_e32 v89, 0
	v_mov_b32_e32 v90, 0
	v_mov_b32_e32 v91, 0
	v_mov_b32_e32 v106, 0
	v_mov_b32_e32 v107, 0
	v_mov_b32_e32 v108, 0
	v_mov_b32_e32 v109, 0
	v_mov_b32_e32 v92, 0
	v_mov_b32_e32 v96, 0
	v_mov_b32_e32 v97, 0
	v_mov_b32_e32 v98, 0
	v_mov_b32_e32 v110, 0
	v_mov_b32_e32 v111, 0
	s_waitcnt vmcnt(3)
	v_cndmask_b32_e64 v0, 0, v4, s[0:1]
	v_cndmask_b32_e64 v3, 0, v3, s[0:1]
	;; [unrolled: 1-line block ×4, first 2 shown]
	v_cmp_gt_i32_e64 s[0:1], s11, v29
	s_and_b64 s[0:1], s[6:7], s[0:1]
	s_and_b64 s[0:1], s[0:1], s[2:3]
	s_and_b64 s[0:1], vcc, s[0:1]
	s_waitcnt vmcnt(2)
	v_cndmask_b32_e64 v4, 0, v8, s[0:1]
	v_cndmask_b32_e64 v7, 0, v7, s[0:1]
	;; [unrolled: 1-line block ×4, first 2 shown]
	v_cmp_gt_i32_e64 s[2:3], s49, v24
	v_cmp_gt_i32_e64 s[0:1], s30, v23
	s_and_b64 s[2:3], s[2:3], s[0:1]
	s_waitcnt vmcnt(1)
	v_cndmask_b32_e64 v8, 0, v12, s[2:3]
	v_add_u32_e32 v12, s12, v24
	v_cndmask_b32_e64 v11, 0, v11, s[2:3]
	v_cndmask_b32_e64 v10, 0, v10, s[2:3]
	;; [unrolled: 1-line block ×3, first 2 shown]
	v_cmp_gt_i32_e64 s[2:3], s49, v12
	s_and_b64 s[2:3], s[2:3], s[0:1]
	buffer_store_dword v12, off, s[60:63], 0 offset:8 ; 4-byte Folded Spill
	s_waitcnt vmcnt(1)
	v_cndmask_b32_e64 v12, 0, v16, s[2:3]
	v_lshlrev_b32_e32 v16, 2, v21
	v_lshl_or_b32 v16, v19, 9, v16
	v_cndmask_b32_e64 v15, 0, v15, s[2:3]
	v_cndmask_b32_e64 v14, 0, v14, s[2:3]
	;; [unrolled: 1-line block ×3, first 2 shown]
	ds_write2st64_b32 v16, v1, v2 offset1:2
	ds_write2st64_b32 v16, v3, v0 offset0:4 offset1:6
	ds_write2st64_b32 v16, v5, v6 offset0:8 offset1:10
	;; [unrolled: 1-line block ×7, first 2 shown]
	v_or_b32_e32 v0, 36, v19
	v_mul_lo_u32 v4, s56, v0
	v_or_b32_e32 v1, 32, v19
	v_mul_lo_u32 v5, s56, v1
	v_or_b32_e32 v2, 20, v19
	v_mul_lo_u32 v7, s56, v2
	v_or_b32_e32 v3, 16, v19
	v_mul_lo_u32 v8, s56, v3
	buffer_store_dword v4, off, s[60:63], 0 offset:12 ; 4-byte Folded Spill
	v_lshlrev_b32_e32 v4, 1, v4
	v_mul_lo_u32 v3, s59, v3
	v_mul_lo_u32 v0, s59, v0
	;; [unrolled: 1-line block ×4, first 2 shown]
	buffer_store_dword v25, off, s[60:63], 0 offset:152 ; 4-byte Folded Spill
	buffer_store_dword v26, off, s[60:63], 0 offset:148 ; 4-byte Folded Spill
	;; [unrolled: 1-line block ×4, first 2 shown]
	v_lshlrev_b32_e32 v4, 1, v5
	buffer_store_dword v4, off, s[60:63], 0 offset:120 ; 4-byte Folded Spill
	v_lshlrev_b32_e32 v4, 1, v7
	buffer_store_dword v4, off, s[60:63], 0 offset:124 ; 4-byte Folded Spill
	v_lshlrev_b32_e32 v4, 1, v8
	s_mov_b32 s30, s10
	v_lshlrev_b32_e32 v14, 2, v25
	v_lshlrev_b32_e32 v15, 2, v26
	s_mul_i32 s10, s56, 12
	v_lshlrev_b32_e32 v19, 1, v30
	s_lshl_b32 s56, s56, 6
	buffer_store_dword v5, off, s[60:63], 0 offset:16 ; 4-byte Folded Spill
	buffer_store_dword v4, off, s[60:63], 0 offset:128 ; 4-byte Folded Spill
	;; [unrolled: 1-line block ×3, first 2 shown]
	v_mov_b32_e32 v4, v0
	buffer_store_dword v1, off, s[60:63], 0 offset:140 ; 4-byte Folded Spill
	v_mov_b32_e32 v5, v1
	v_mov_b32_e32 v0, v2
	;; [unrolled: 1-line block ×28, first 2 shown]
	s_mov_b32 s59, 0
	buffer_store_dword v2, off, s[60:63], 0 offset:144 ; 4-byte Folded Spill
	buffer_store_dword v3, off, s[60:63], 0 offset:132 ; 4-byte Folded Spill
	buffer_store_dword v29, off, s[60:63], 0 offset:156 ; 4-byte Folded Spill
	buffer_store_dword v29, off, s[60:63], 0 offset:20 ; 4-byte Folded Spill
.LBB1_1:                                ; =>This Inner Loop Header: Depth=1
	v_mul_hi_u32 v2, s52, v5
	buffer_store_dword v1, off, s[60:63], 0 offset:40 ; 4-byte Folded Spill
	buffer_store_dword v0, off, s[60:63], 0 offset:4 ; 4-byte Folded Spill
	;; [unrolled: 1-line block ×4, first 2 shown]
	buffer_store_dword v19, off, s[60:63], 0 ; 4-byte Folded Spill
	buffer_store_dword v8, off, s[60:63], 0 offset:28 ; 4-byte Folded Spill
	buffer_store_dword v7, off, s[60:63], 0 offset:24 ; 4-byte Folded Spill
	v_mul_hi_u32 v0, s52, v1
	buffer_load_dword v1, off, s[60:63], 0 offset:4 ; 4-byte Folded Reload
	s_add_i32 s59, s59, 32
	buffer_store_dword v2, off, s[60:63], 0 offset:48 ; 4-byte Folded Spill
	v_mul_hi_u32 v2, s52, v4
	buffer_store_dword v2, off, s[60:63], 0 offset:44 ; 4-byte Folded Spill
	buffer_load_dword v2, off, s[60:63], 0 offset:132 ; 4-byte Folded Reload
	s_waitcnt vmcnt(3)
	v_mul_hi_u32 v1, s52, v1
	s_waitcnt vmcnt(0)
	v_add_u32_e32 v4, s37, v2
	v_add_u32_e32 v0, v4, v0
	v_lshrrev_b32_e32 v5, s51, v0
	v_mul_lo_u32 v0, s58, v5
	v_sub_u32_e32 v6, v5, v39
	v_mul_lo_u32 v6, v6, s44
	v_cmp_gt_i32_e64 s[2:3], s11, v4
	v_add_u32_e32 v13, v4, v0
	v_sub_u32_e32 v0, v0, v31
	v_add_u32_e32 v0, v4, v0
	v_add_u32_e32 v17, v6, v37
	v_mul_lo_u32 v6, v6, s13
	v_mul_lo_u32 v0, v0, s14
	v_cmp_gt_i32_e64 s[8:9], s18, v17
	v_cmp_le_i32_e64 s[6:7], s48, v17
	s_and_b64 s[2:3], s[8:9], s[2:3]
	v_add3_u32 v18, v6, v34, v0
	v_lshlrev_b32_e32 v0, 1, v18
	buffer_load_dwordx4 v[9:12], v0, s[20:23], 0 offen
	s_and_b64 s[2:3], s[2:3], s[6:7]
	s_and_b64 s[2:3], vcc, s[2:3]
	s_waitcnt vmcnt(0)
	v_cndmask_b32_e64 v0, 0, v12, s[2:3]
	buffer_store_dword v0, off, s[60:63], 0 offset:60 ; 4-byte Folded Spill
	v_cndmask_b32_e64 v0, 0, v11, s[2:3]
	buffer_store_dword v0, off, s[60:63], 0 offset:64 ; 4-byte Folded Spill
	;; [unrolled: 2-line block ×4, first 2 shown]
	buffer_load_dword v0, off, s[60:63], 0 offset:144 ; 4-byte Folded Reload
	s_waitcnt vmcnt(0)
	v_add_u32_e32 v10, s37, v0
	v_add_u32_e32 v0, v10, v1
	v_lshrrev_b32_e32 v4, s51, v0
	v_mad_u64_u32 v[0:1], s[2:3], s58, v4, v[10:11]
	buffer_store_dword v0, off, s[60:63], 0 offset:52 ; 4-byte Folded Spill
	s_nop 0
	buffer_store_dword v1, off, s[60:63], 0 offset:56 ; 4-byte Folded Spill
	v_sub_u32_e32 v1, v4, v5
	v_mul_lo_u32 v5, v1, s44
	v_cmp_gt_i32_e64 s[2:3], s11, v10
	v_add_u32_e32 v3, v5, v17
	v_mul_lo_u32 v5, v5, s13
	v_cmp_gt_i32_e64 s[8:9], s18, v3
	v_cmp_le_i32_e64 s[6:7], s48, v3
	s_and_b64 s[2:3], s[8:9], s[2:3]
	s_and_b64 s[2:3], s[2:3], s[6:7]
	s_and_b64 s[2:3], vcc, s[2:3]
	v_sub_u32_e32 v11, v0, v13
	v_mul_lo_u32 v11, v11, s14
	v_add3_u32 v5, v18, v5, v11
	v_lshlrev_b32_e32 v11, 1, v5
	buffer_load_dwordx4 v[26:29], v11, s[20:23], 0 offen
	s_waitcnt vmcnt(0)
	v_cndmask_b32_e64 v0, 0, v29, s[2:3]
	buffer_store_dword v0, off, s[60:63], 0 offset:76 ; 4-byte Folded Spill
	v_cndmask_b32_e64 v0, 0, v28, s[2:3]
	buffer_store_dword v0, off, s[60:63], 0 offset:80 ; 4-byte Folded Spill
	buffer_load_dword v0, off, s[60:63], 0 offset:128 ; 4-byte Folded Reload
	v_cndmask_b32_e64 v11, 0, v27, s[2:3]
	v_cndmask_b32_e64 v39, 0, v26, s[2:3]
	v_cmp_gt_i32_e64 s[2:3], s49, v8
	s_and_b64 s[2:3], s[0:1], s[2:3]
	s_waitcnt vmcnt(0)
	v_add_u32_e32 v12, v0, v19
	buffer_load_dword v0, off, s[60:63], 0 offset:124 ; 4-byte Folded Reload
	buffer_load_dwordx4 v[26:29], v12, s[28:31], 0 offen
	s_waitcnt vmcnt(1)
	v_add_u32_e32 v17, v0, v19
	s_waitcnt vmcnt(0)
	v_cndmask_b32_e64 v10, 0, v29, s[2:3]
	v_cndmask_b32_e64 v12, 0, v28, s[2:3]
	;; [unrolled: 1-line block ×4, first 2 shown]
	buffer_load_dwordx4 v[26:29], v17, s[28:31], 0 offen
	v_cmp_gt_i32_e64 s[2:3], s49, v7
	s_and_b64 s[2:3], s[0:1], s[2:3]
	s_waitcnt vmcnt(0) lgkmcnt(0)
	s_barrier
	v_cndmask_b32_e64 v17, 0, v29, s[2:3]
	v_cndmask_b32_e64 v8, 0, v28, s[2:3]
	v_cndmask_b32_e64 v7, 0, v27, s[2:3]
	v_cndmask_b32_e64 v6, 0, v26, s[2:3]
	ds_read_b128 v[26:29], v14
	ds_read_b128 v[48:51], v15 offset:16384
	ds_read_b128 v[55:58], v15 offset:16640
	;; [unrolled: 1-line block ×3, first 2 shown]
	s_waitcnt lgkmcnt(2)
	v_dot2_f32_f16 v18, v26, v48, v122
	v_dot2_f32_f16 v19, v26, v49, v121
	;; [unrolled: 1-line block ×16, first 2 shown]
	s_waitcnt lgkmcnt(1)
	v_dot2_f32_f16 v110, v26, v55, v114
	v_dot2_f32_f16 v105, v26, v56, v105
	;; [unrolled: 1-line block ×16, first 2 shown]
	ds_read_b128 v[26:29], v14 offset:512
	s_waitcnt lgkmcnt(1)
	v_dot2_f32_f16 v83, v123, v48, v83
	v_dot2_f32_f16 v82, v123, v49, v82
	;; [unrolled: 1-line block ×16, first 2 shown]
	ds_read_b128 v[48:51], v15 offset:16896
	v_dot2_f32_f16 v73, v123, v55, v73
	v_dot2_f32_f16 v71, v123, v56, v71
	;; [unrolled: 1-line block ×16, first 2 shown]
	ds_read_b128 v[55:58], v15 offset:17152
	ds_read_b128 v[59:62], v14 offset:768
	s_waitcnt lgkmcnt(2)
	v_dot2_f32_f16 v18, v26, v48, v18
	v_dot2_f32_f16 v19, v26, v49, v19
	;; [unrolled: 1-line block ×16, first 2 shown]
	s_waitcnt lgkmcnt(1)
	v_dot2_f32_f16 v110, v26, v55, v110
	v_dot2_f32_f16 v105, v26, v56, v105
	;; [unrolled: 1-line block ×16, first 2 shown]
	ds_read_b128 v[26:29], v14 offset:1024
	s_waitcnt lgkmcnt(1)
	v_dot2_f32_f16 v83, v59, v48, v83
	v_dot2_f32_f16 v82, v59, v49, v82
	v_dot2_f32_f16 v81, v59, v50, v81
	v_dot2_f32_f16 v80, v59, v51, v80
	v_dot2_f32_f16 v79, v60, v48, v79
	v_dot2_f32_f16 v78, v60, v49, v78
	v_dot2_f32_f16 v77, v60, v50, v77
	v_dot2_f32_f16 v76, v60, v51, v76
	v_dot2_f32_f16 v75, v61, v48, v75
	v_dot2_f32_f16 v74, v61, v49, v74
	v_dot2_f32_f16 v72, v61, v50, v72
	v_dot2_f32_f16 v70, v61, v51, v70
	v_dot2_f32_f16 v63, v62, v48, v63
	v_dot2_f32_f16 v93, v62, v49, v93
	v_dot2_f32_f16 v94, v62, v50, v94
	v_dot2_f32_f16 v95, v62, v51, v95
	ds_read_b128 v[48:51], v15 offset:17408
	v_dot2_f32_f16 v73, v59, v55, v73
	v_dot2_f32_f16 v71, v59, v56, v71
	;; [unrolled: 1-line block ×16, first 2 shown]
	ds_read_b128 v[55:58], v15 offset:17664
	ds_read_b128 v[59:62], v14 offset:1280
	s_waitcnt lgkmcnt(2)
	v_dot2_f32_f16 v18, v26, v48, v18
	v_dot2_f32_f16 v19, v26, v49, v19
	;; [unrolled: 1-line block ×16, first 2 shown]
	s_waitcnt lgkmcnt(1)
	v_dot2_f32_f16 v110, v26, v55, v110
	v_dot2_f32_f16 v105, v26, v56, v105
	;; [unrolled: 1-line block ×16, first 2 shown]
	ds_read_b128 v[26:29], v14 offset:1536
	s_waitcnt lgkmcnt(1)
	v_dot2_f32_f16 v83, v59, v48, v83
	v_dot2_f32_f16 v82, v59, v49, v82
	;; [unrolled: 1-line block ×16, first 2 shown]
	ds_read_b128 v[48:51], v15 offset:17920
	v_dot2_f32_f16 v73, v59, v55, v73
	v_dot2_f32_f16 v71, v59, v56, v71
	;; [unrolled: 1-line block ×16, first 2 shown]
	ds_read_b128 v[55:58], v15 offset:18176
	ds_read_b128 v[59:62], v14 offset:1792
	s_waitcnt lgkmcnt(2)
	v_dot2_f32_f16 v18, v26, v48, v18
	v_dot2_f32_f16 v19, v26, v49, v19
	;; [unrolled: 1-line block ×16, first 2 shown]
	s_waitcnt lgkmcnt(1)
	v_dot2_f32_f16 v110, v26, v55, v110
	v_dot2_f32_f16 v105, v26, v56, v105
	;; [unrolled: 1-line block ×16, first 2 shown]
	ds_read_b128 v[26:29], v14 offset:2048
	s_waitcnt lgkmcnt(1)
	v_dot2_f32_f16 v83, v59, v48, v83
	v_dot2_f32_f16 v82, v59, v49, v82
	;; [unrolled: 1-line block ×16, first 2 shown]
	ds_read_b128 v[48:51], v15 offset:18432
	v_dot2_f32_f16 v73, v59, v55, v73
	v_dot2_f32_f16 v71, v59, v56, v71
	;; [unrolled: 1-line block ×16, first 2 shown]
	ds_read_b128 v[55:58], v15 offset:18688
	ds_read_b128 v[59:62], v14 offset:2304
	s_waitcnt lgkmcnt(2)
	v_dot2_f32_f16 v18, v26, v48, v18
	v_dot2_f32_f16 v19, v26, v49, v19
	;; [unrolled: 1-line block ×16, first 2 shown]
	s_waitcnt lgkmcnt(1)
	v_dot2_f32_f16 v110, v26, v55, v110
	v_dot2_f32_f16 v105, v26, v56, v105
	;; [unrolled: 1-line block ×16, first 2 shown]
	ds_read_b128 v[26:29], v14 offset:2560
	s_waitcnt lgkmcnt(1)
	v_dot2_f32_f16 v83, v59, v48, v83
	v_dot2_f32_f16 v82, v59, v49, v82
	;; [unrolled: 1-line block ×16, first 2 shown]
	ds_read_b128 v[48:51], v15 offset:18944
	v_dot2_f32_f16 v73, v59, v55, v73
	v_dot2_f32_f16 v71, v59, v56, v71
	;; [unrolled: 1-line block ×16, first 2 shown]
	ds_read_b128 v[55:58], v15 offset:19200
	ds_read_b128 v[59:62], v14 offset:2816
	s_waitcnt lgkmcnt(2)
	v_dot2_f32_f16 v18, v26, v48, v18
	v_dot2_f32_f16 v19, v26, v49, v19
	;; [unrolled: 1-line block ×16, first 2 shown]
	s_waitcnt lgkmcnt(1)
	v_dot2_f32_f16 v110, v26, v55, v110
	v_dot2_f32_f16 v105, v26, v56, v105
	;; [unrolled: 1-line block ×16, first 2 shown]
	ds_read_b128 v[26:29], v14 offset:3072
	s_waitcnt lgkmcnt(1)
	v_dot2_f32_f16 v83, v59, v48, v83
	v_dot2_f32_f16 v82, v59, v49, v82
	;; [unrolled: 1-line block ×16, first 2 shown]
	ds_read_b128 v[48:51], v15 offset:19456
	v_dot2_f32_f16 v73, v59, v55, v73
	v_dot2_f32_f16 v71, v59, v56, v71
	;; [unrolled: 1-line block ×16, first 2 shown]
	ds_read_b128 v[55:58], v15 offset:19712
	ds_read_b128 v[59:62], v14 offset:3328
	s_waitcnt lgkmcnt(2)
	v_dot2_f32_f16 v18, v26, v48, v18
	v_dot2_f32_f16 v19, v26, v49, v19
	;; [unrolled: 1-line block ×16, first 2 shown]
	s_waitcnt lgkmcnt(1)
	v_dot2_f32_f16 v110, v26, v55, v110
	v_dot2_f32_f16 v105, v26, v56, v105
	;; [unrolled: 1-line block ×16, first 2 shown]
	ds_read_b128 v[26:29], v14 offset:3584
	s_waitcnt lgkmcnt(1)
	v_dot2_f32_f16 v83, v59, v48, v83
	v_dot2_f32_f16 v82, v59, v49, v82
	;; [unrolled: 1-line block ×16, first 2 shown]
	ds_read_b128 v[48:51], v15 offset:19968
	v_dot2_f32_f16 v73, v59, v55, v73
	v_dot2_f32_f16 v71, v59, v56, v71
	;; [unrolled: 1-line block ×16, first 2 shown]
	ds_read_b128 v[55:58], v15 offset:20224
	ds_read_b128 v[59:62], v14 offset:3840
	s_waitcnt lgkmcnt(2)
	v_dot2_f32_f16 v18, v26, v48, v18
	v_dot2_f32_f16 v19, v26, v49, v19
	;; [unrolled: 1-line block ×16, first 2 shown]
	s_waitcnt lgkmcnt(1)
	v_dot2_f32_f16 v110, v26, v55, v110
	v_dot2_f32_f16 v105, v26, v56, v105
	;; [unrolled: 1-line block ×16, first 2 shown]
	ds_read_b128 v[26:29], v14 offset:4096
	s_waitcnt lgkmcnt(1)
	v_dot2_f32_f16 v83, v59, v48, v83
	v_dot2_f32_f16 v82, v59, v49, v82
	;; [unrolled: 1-line block ×16, first 2 shown]
	ds_read_b128 v[48:51], v15 offset:20480
	v_dot2_f32_f16 v73, v59, v55, v73
	v_dot2_f32_f16 v71, v59, v56, v71
	;; [unrolled: 1-line block ×16, first 2 shown]
	ds_read_b128 v[55:58], v15 offset:20736
	ds_read_b128 v[59:62], v14 offset:4352
	s_waitcnt lgkmcnt(2)
	v_dot2_f32_f16 v18, v26, v48, v18
	v_dot2_f32_f16 v19, v26, v49, v19
	;; [unrolled: 1-line block ×16, first 2 shown]
	s_waitcnt lgkmcnt(1)
	v_dot2_f32_f16 v110, v26, v55, v110
	v_dot2_f32_f16 v105, v26, v56, v105
	;; [unrolled: 1-line block ×16, first 2 shown]
	ds_read_b128 v[26:29], v14 offset:4608
	s_waitcnt lgkmcnt(1)
	v_dot2_f32_f16 v83, v59, v48, v83
	v_dot2_f32_f16 v82, v59, v49, v82
	;; [unrolled: 1-line block ×16, first 2 shown]
	ds_read_b128 v[48:51], v15 offset:20992
	v_dot2_f32_f16 v73, v59, v55, v73
	v_dot2_f32_f16 v71, v59, v56, v71
	;; [unrolled: 1-line block ×16, first 2 shown]
	ds_read_b128 v[55:58], v15 offset:21248
	ds_read_b128 v[59:62], v14 offset:4864
	s_waitcnt lgkmcnt(2)
	v_dot2_f32_f16 v18, v26, v48, v18
	v_dot2_f32_f16 v19, v26, v49, v19
	;; [unrolled: 1-line block ×16, first 2 shown]
	s_waitcnt lgkmcnt(1)
	v_dot2_f32_f16 v110, v26, v55, v110
	v_dot2_f32_f16 v105, v26, v56, v105
	;; [unrolled: 1-line block ×16, first 2 shown]
	ds_read_b128 v[26:29], v14 offset:5120
	s_waitcnt lgkmcnt(1)
	v_dot2_f32_f16 v83, v59, v48, v83
	v_dot2_f32_f16 v82, v59, v49, v82
	;; [unrolled: 1-line block ×16, first 2 shown]
	ds_read_b128 v[48:51], v15 offset:21504
	v_dot2_f32_f16 v73, v59, v55, v73
	v_dot2_f32_f16 v71, v59, v56, v71
	;; [unrolled: 1-line block ×16, first 2 shown]
	ds_read_b128 v[55:58], v15 offset:21760
	ds_read_b128 v[59:62], v14 offset:5376
	s_waitcnt lgkmcnt(2)
	v_dot2_f32_f16 v18, v26, v48, v18
	v_dot2_f32_f16 v19, v26, v49, v19
	;; [unrolled: 1-line block ×16, first 2 shown]
	s_waitcnt lgkmcnt(1)
	v_dot2_f32_f16 v110, v26, v55, v110
	v_dot2_f32_f16 v105, v26, v56, v105
	;; [unrolled: 1-line block ×16, first 2 shown]
	ds_read_b128 v[26:29], v14 offset:5632
	s_waitcnt lgkmcnt(1)
	v_dot2_f32_f16 v83, v59, v48, v83
	v_dot2_f32_f16 v82, v59, v49, v82
	;; [unrolled: 1-line block ×16, first 2 shown]
	ds_read_b128 v[48:51], v15 offset:22016
	v_dot2_f32_f16 v73, v59, v55, v73
	v_dot2_f32_f16 v71, v59, v56, v71
	v_dot2_f32_f16 v69, v59, v57, v69
	v_dot2_f32_f16 v68, v59, v58, v68
	v_dot2_f32_f16 v67, v60, v55, v67
	v_dot2_f32_f16 v66, v60, v56, v66
	v_dot2_f32_f16 v65, v60, v57, v65
	v_dot2_f32_f16 v64, v60, v58, v64
	v_dot2_f32_f16 v111, v61, v55, v111
	v_dot2_f32_f16 v112, v61, v56, v112
	v_dot2_f32_f16 v113, v61, v57, v113
	v_dot2_f32_f16 v114, v61, v58, v114
	v_dot2_f32_f16 v84, v62, v55, v84
	v_dot2_f32_f16 v85, v62, v56, v85
	v_dot2_f32_f16 v86, v62, v57, v86
	v_dot2_f32_f16 v87, v62, v58, v87
	ds_read_b128 v[55:58], v15 offset:22272
	ds_read_b128 v[59:62], v14 offset:5888
	s_waitcnt lgkmcnt(2)
	v_dot2_f32_f16 v18, v26, v48, v18
	v_dot2_f32_f16 v19, v26, v49, v19
	;; [unrolled: 1-line block ×16, first 2 shown]
	s_waitcnt lgkmcnt(1)
	v_dot2_f32_f16 v110, v26, v55, v110
	v_dot2_f32_f16 v105, v26, v56, v105
	;; [unrolled: 1-line block ×16, first 2 shown]
	ds_read_b128 v[26:29], v14 offset:6144
	s_waitcnt lgkmcnt(1)
	v_dot2_f32_f16 v83, v59, v48, v83
	v_dot2_f32_f16 v82, v59, v49, v82
	;; [unrolled: 1-line block ×16, first 2 shown]
	ds_read_b128 v[48:51], v15 offset:22528
	v_dot2_f32_f16 v73, v59, v55, v73
	v_dot2_f32_f16 v71, v59, v56, v71
	;; [unrolled: 1-line block ×16, first 2 shown]
	ds_read_b128 v[55:58], v15 offset:22784
	ds_read_b128 v[59:62], v14 offset:6400
	s_waitcnt lgkmcnt(2)
	v_dot2_f32_f16 v18, v26, v48, v18
	v_dot2_f32_f16 v19, v26, v49, v19
	;; [unrolled: 1-line block ×16, first 2 shown]
	s_waitcnt lgkmcnt(1)
	v_dot2_f32_f16 v110, v26, v55, v110
	v_dot2_f32_f16 v105, v26, v56, v105
	;; [unrolled: 1-line block ×16, first 2 shown]
	ds_read_b128 v[26:29], v14 offset:6656
	s_waitcnt lgkmcnt(1)
	v_dot2_f32_f16 v83, v59, v48, v83
	v_dot2_f32_f16 v82, v59, v49, v82
	;; [unrolled: 1-line block ×16, first 2 shown]
	ds_read_b128 v[48:51], v15 offset:23040
	v_dot2_f32_f16 v73, v59, v55, v73
	v_dot2_f32_f16 v71, v59, v56, v71
	;; [unrolled: 1-line block ×16, first 2 shown]
	ds_read_b128 v[55:58], v15 offset:23296
	ds_read_b128 v[59:62], v14 offset:6912
	s_waitcnt lgkmcnt(2)
	v_dot2_f32_f16 v18, v26, v48, v18
	v_dot2_f32_f16 v19, v26, v49, v19
	;; [unrolled: 1-line block ×16, first 2 shown]
	s_waitcnt lgkmcnt(1)
	v_dot2_f32_f16 v110, v26, v55, v110
	v_dot2_f32_f16 v105, v26, v56, v105
	;; [unrolled: 1-line block ×16, first 2 shown]
	ds_read_b128 v[26:29], v14 offset:7168
	s_waitcnt lgkmcnt(1)
	v_dot2_f32_f16 v83, v59, v48, v83
	v_dot2_f32_f16 v82, v59, v49, v82
	v_dot2_f32_f16 v81, v59, v50, v81
	v_dot2_f32_f16 v80, v59, v51, v80
	v_dot2_f32_f16 v79, v60, v48, v79
	v_dot2_f32_f16 v78, v60, v49, v78
	v_dot2_f32_f16 v77, v60, v50, v77
	v_dot2_f32_f16 v76, v60, v51, v76
	v_dot2_f32_f16 v75, v61, v48, v75
	v_dot2_f32_f16 v74, v61, v49, v74
	v_dot2_f32_f16 v72, v61, v50, v72
	v_dot2_f32_f16 v70, v61, v51, v70
	v_dot2_f32_f16 v63, v62, v48, v63
	v_dot2_f32_f16 v93, v62, v49, v93
	v_dot2_f32_f16 v94, v62, v50, v94
	v_dot2_f32_f16 v95, v62, v51, v95
	ds_read_b128 v[48:51], v15 offset:23552
	v_dot2_f32_f16 v73, v59, v55, v73
	v_dot2_f32_f16 v71, v59, v56, v71
	;; [unrolled: 1-line block ×16, first 2 shown]
	ds_read_b128 v[55:58], v15 offset:23808
	ds_read_b128 v[59:62], v14 offset:7424
	s_waitcnt lgkmcnt(2)
	v_dot2_f32_f16 v18, v26, v48, v18
	v_dot2_f32_f16 v19, v26, v49, v19
	;; [unrolled: 1-line block ×16, first 2 shown]
	s_waitcnt lgkmcnt(1)
	v_dot2_f32_f16 v110, v26, v55, v110
	v_dot2_f32_f16 v115, v26, v56, v105
	;; [unrolled: 1-line block ×16, first 2 shown]
	ds_read_b128 v[26:29], v14 offset:7680
	s_waitcnt lgkmcnt(1)
	v_dot2_f32_f16 v83, v59, v48, v83
	v_dot2_f32_f16 v82, v59, v49, v82
	;; [unrolled: 1-line block ×16, first 2 shown]
	ds_read_b128 v[48:51], v15 offset:24064
	v_dot2_f32_f16 v42, v59, v55, v73
	v_dot2_f32_f16 v34, v59, v56, v71
	;; [unrolled: 1-line block ×16, first 2 shown]
	ds_read_b128 v[55:58], v15 offset:24320
	ds_read_b128 v[71:74], v14 offset:7936
	s_waitcnt lgkmcnt(2)
	v_dot2_f32_f16 v104, v29, v49, v108
	v_dot2_f32_f16 v105, v29, v50, v107
	;; [unrolled: 1-line block ×3, first 2 shown]
	s_waitcnt lgkmcnt(1)
	v_dot2_f32_f16 v108, v26, v56, v115
	s_waitcnt lgkmcnt(0)
	v_dot2_f32_f16 v75, v71, v48, v83
	v_dot2_f32_f16 v83, v73, v48, v46
	;; [unrolled: 1-line block ×14, first 2 shown]
	buffer_load_dword v0, off, s[60:63], 0 offset:68 ; 4-byte Folded Reload
	buffer_load_dword v1, off, s[60:63], 0 offset:72 ; 4-byte Folded Reload
	v_dot2_f32_f16 v113, v27, v57, v120
	v_dot2_f32_f16 v114, v27, v58, v121
	v_dot2_f32_f16 v115, v28, v55, v122
	v_dot2_f32_f16 v120, v29, v56, v90
	v_dot2_f32_f16 v121, v29, v57, v89
	v_dot2_f32_f16 v122, v29, v58, v88
	v_dot2_f32_f16 v76, v71, v49, v82
	v_dot2_f32_f16 v77, v71, v50, v81
	v_dot2_f32_f16 v78, v71, v51, v80
	v_dot2_f32_f16 v79, v72, v48, v79
	v_dot2_f32_f16 v80, v72, v49, v127
	v_dot2_f32_f16 v81, v72, v50, v54
	v_dot2_f32_f16 v82, v72, v51, v45
	v_dot2_f32_f16 v88, v74, v49, v41
	v_dot2_f32_f16 v89, v74, v50, v44
	v_dot2_f32_f16 v90, v74, v51, v33
	v_dot2_f32_f16 v59, v71, v55, v42
	v_dot2_f32_f16 v60, v71, v56, v34
	v_dot2_f32_f16 v64, v72, v56, v66
	v_dot2_f32_f16 v65, v72, v57, v65
	v_dot2_f32_f16 v66, v72, v58, v35
	v_dot2_f32_f16 v71, v74, v55, v40
	v_dot2_f32_f16 v72, v74, v56, v38
	v_dot2_f32_f16 v74, v74, v58, v2
	v_dot2_f32_f16 v107, v26, v55, v110
	v_dot2_f32_f16 v110, v26, v58, v117
	v_dot2_f32_f16 v111, v27, v55, v118
	v_dot2_f32_f16 v118, v28, v58, v125
	v_dot2_f32_f16 v109, v26, v57, v116
	v_dot2_f32_f16 v117, v28, v57, v124
	v_dot2_f32_f16 v91, v26, v48, v18
	v_dot2_f32_f16 v92, v26, v49, v19
	v_dot2_f32_f16 v93, v26, v50, v20
	v_dot2_f32_f16 v94, v26, v51, v21
	v_dot2_f32_f16 v95, v27, v48, v22
	v_dot2_f32_f16 v96, v27, v49, v23
	v_dot2_f32_f16 v97, v27, v50, v24
	v_dot2_f32_f16 v98, v27, v51, v30
	v_dot2_f32_f16 v99, v28, v48, v31
	v_dot2_f32_f16 v100, v28, v49, v32
	v_dot2_f32_f16 v101, v28, v50, v52
	v_dot2_f32_f16 v102, v28, v51, v53
	v_dot2_f32_f16 v106, v29, v51, v106
	v_dot2_f32_f16 v112, v27, v56, v119
	v_dot2_f32_f16 v116, v28, v56, v123
	v_dot2_f32_f16 v119, v29, v55, v126
	s_waitcnt vmcnt(0)
	ds_write2st64_b32 v16, v1, v0 offset0:32 offset1:34
	buffer_load_dword v0, off, s[60:63], 0 offset:60 ; 4-byte Folded Reload
	buffer_load_dword v1, off, s[60:63], 0 offset:64 ; 4-byte Folded Reload
	s_waitcnt vmcnt(0)
	ds_write2st64_b32 v16, v1, v0 offset0:36 offset1:38
	ds_write2st64_b32 v16, v39, v11 offset0:40 offset1:42
	buffer_load_dword v0, off, s[60:63], 0 offset:76 ; 4-byte Folded Reload
	buffer_load_dword v1, off, s[60:63], 0 offset:80 ; 4-byte Folded Reload
	s_waitcnt vmcnt(0)
	ds_write2st64_b32 v16, v1, v0 offset0:44 offset1:46
	ds_write2st64_b32 v16, v13, v9 offset0:96 offset1:98
	;; [unrolled: 1-line block ×5, first 2 shown]
	buffer_load_dword v0, off, s[60:63], 0 offset:140 ; 4-byte Folded Reload
	s_waitcnt vmcnt(0)
	v_add_u32_e32 v6, s37, v0
	buffer_load_dword v0, off, s[60:63], 0 offset:48 ; 4-byte Folded Reload
	buffer_load_dword v1, off, s[60:63], 0 offset:52 ; 4-byte Folded Reload
	;; [unrolled: 1-line block ×3, first 2 shown]
	s_waitcnt vmcnt(2)
	v_add_u32_e32 v0, v6, v0
	v_lshrrev_b32_e32 v0, s51, v0
	v_mad_u64_u32 v[7:8], s[2:3], s58, v0, v[6:7]
	s_waitcnt vmcnt(0)
	v_sub_u32_e32 v2, v0, v4
	v_mul_lo_u32 v2, v2, s44
	v_sub_u32_e32 v1, v7, v1
	v_mul_lo_u32 v1, v1, s14
	v_cmp_gt_i32_e64 s[2:3], s11, v6
	v_add_u32_e32 v8, v2, v3
	v_mul_lo_u32 v2, v2, s13
	v_cmp_gt_i32_e64 s[8:9], s18, v8
	v_cmp_le_i32_e64 s[6:7], s48, v8
	s_and_b64 s[2:3], s[8:9], s[2:3]
	v_add3_u32 v1, v1, v2, v5
	v_lshlrev_b32_e32 v2, 1, v1
	buffer_load_dwordx4 v[3:6], v2, s[20:23], 0 offen
	s_and_b64 s[2:3], s[2:3], s[6:7]
	s_and_b64 s[2:3], vcc, s[2:3]
	s_waitcnt vmcnt(0)
	v_cndmask_b32_e64 v2, 0, v6, s[2:3]
	buffer_store_dword v2, off, s[60:63], 0 offset:64 ; 4-byte Folded Spill
	v_cndmask_b32_e64 v2, 0, v5, s[2:3]
	buffer_store_dword v2, off, s[60:63], 0 offset:68 ; 4-byte Folded Spill
	;; [unrolled: 2-line block ×4, first 2 shown]
	buffer_load_dword v2, off, s[60:63], 0 offset:136 ; 4-byte Folded Reload
	s_add_i32 s2, s45, s41
	buffer_load_dword v4, off, s[60:63], 0 offset:20 ; 4-byte Folded Reload
	buffer_load_dword v3, off, s[60:63], 0 offset:44 ; 4-byte Folded Reload
	;; [unrolled: 1-line block ×3, first 2 shown]
	s_add_i32 s2, s2, s2
	s_waitcnt vmcnt(3)
	v_add_u32_e32 v2, s37, v2
	s_add_i32 s37, s37, s57
	s_waitcnt vmcnt(2)
	v_add_u32_e32 v4, s2, v4
	s_waitcnt vmcnt(1)
	v_add_u32_e32 v3, v2, v3
	v_lshrrev_b32_e32 v39, s51, v3
	v_mul_lo_u32 v3, v39, s50
	v_mul_lo_u32 v33, s58, v39
	v_sub_u32_e32 v0, v39, v0
	v_mul_lo_u32 v0, v0, s44
	v_sub_u32_e32 v3, v4, v3
	buffer_store_dword v3, off, s[60:63], 0 offset:80 ; 4-byte Folded Spill
	v_add_u32_e32 v3, v2, v33
	v_sub_u32_e32 v3, v3, v7
	v_add_u32_e32 v37, v0, v8
	v_mul_lo_u32 v0, v0, s13
	v_mul_lo_u32 v3, v3, s14
	v_cmp_gt_i32_e64 s[2:3], s11, v2
	v_cmp_gt_i32_e64 s[8:9], s18, v37
	v_cmp_le_i32_e64 s[6:7], s48, v37
	v_add3_u32 v34, v3, v0, v1
	v_lshlrev_b32_e32 v0, 1, v34
	buffer_load_dwordx4 v[0:3], v0, s[20:23], 0 offen
	s_and_b64 s[2:3], s[8:9], s[2:3]
	s_and_b64 s[2:3], s[2:3], s[6:7]
	s_and_b64 s[2:3], vcc, s[2:3]
	buffer_store_dword v4, off, s[60:63], 0 offset:20 ; 4-byte Folded Spill
	s_waitcnt vmcnt(1)
	v_cndmask_b32_e64 v3, 0, v3, s[2:3]
	v_cndmask_b32_e64 v2, 0, v2, s[2:3]
	;; [unrolled: 1-line block ×4, first 2 shown]
	buffer_store_dword v3, off, s[60:63], 0 offset:84 ; 4-byte Folded Spill
	buffer_store_dword v2, off, s[60:63], 0 offset:88 ; 4-byte Folded Spill
	;; [unrolled: 1-line block ×4, first 2 shown]
	buffer_load_dword v0, off, s[60:63], 0  ; 4-byte Folded Reload
	s_nop 0
	buffer_load_dword v1, off, s[60:63], 0 offset:120 ; 4-byte Folded Reload
	v_cmp_gt_i32_e64 s[2:3], s49, v58
	s_and_b64 s[2:3], s[0:1], s[2:3]
	v_add_u32_e32 v58, s55, v58
	s_waitcnt vmcnt(0)
	v_add_u32_e32 v0, v1, v0
	buffer_load_dwordx4 v[0:3], v0, s[28:31], 0 offen
	s_waitcnt vmcnt(0)
	v_cndmask_b32_e64 v0, 0, v0, s[2:3]
	buffer_store_dword v0, off, s[60:63], 0 offset:60 ; 4-byte Folded Spill
	buffer_load_dword v0, off, s[60:63], 0 offset:8 ; 4-byte Folded Reload
	v_cndmask_b32_e64 v3, 0, v3, s[2:3]
	v_cndmask_b32_e64 v2, 0, v2, s[2:3]
	;; [unrolled: 1-line block ×3, first 2 shown]
	s_add_i32 s2, s12, s10
	s_add_i32 s2, s2, s2
	buffer_store_dword v3, off, s[60:63], 0 offset:44 ; 4-byte Folded Spill
	buffer_store_dword v2, off, s[60:63], 0 offset:48 ; 4-byte Folded Spill
	;; [unrolled: 1-line block ×3, first 2 shown]
	s_waitcnt vmcnt(3)
	v_add_u32_e32 v0, s2, v0
	buffer_store_dword v0, off, s[60:63], 0 offset:8 ; 4-byte Folded Spill
	buffer_load_dword v0, off, s[60:63], 0 offset:116 ; 4-byte Folded Reload
	s_nop 0
	buffer_load_dword v1, off, s[60:63], 0  ; 4-byte Folded Reload
	buffer_load_dword v57, off, s[60:63], 0 offset:12 ; 4-byte Folded Reload
	s_waitcnt vmcnt(1)
	v_add_u32_e32 v0, v0, v1
	buffer_load_dwordx4 v[0:3], v0, s[28:31], 0 offen
	s_waitcnt vmcnt(1)
	v_cmp_gt_i32_e64 s[2:3], s49, v57
	s_and_b64 s[2:3], s[0:1], s[2:3]
	v_add_u32_e32 v57, s55, v57
	s_cmp_lt_i32 s59, s16
	s_waitcnt vmcnt(0)
	v_cndmask_b32_e64 v3, 0, v3, s[2:3]
	v_cndmask_b32_e64 v2, 0, v2, s[2:3]
	;; [unrolled: 1-line block ×4, first 2 shown]
	buffer_store_dword v3, off, s[60:63], 0 offset:100 ; 4-byte Folded Spill
	buffer_store_dword v2, off, s[60:63], 0 offset:104 ; 4-byte Folded Spill
	;; [unrolled: 1-line block ×4, first 2 shown]
	s_waitcnt vmcnt(0) lgkmcnt(0)
	s_barrier
	ds_read_b128 v[0:3], v14 offset:8192
	ds_read_b128 v[4:7], v15 offset:24576
	;; [unrolled: 1-line block ×4, first 2 shown]
	s_waitcnt lgkmcnt(2)
	v_dot2_f32_f16 v12, v0, v4, v91
	v_dot2_f32_f16 v13, v0, v5, v92
	;; [unrolled: 1-line block ×16, first 2 shown]
	s_waitcnt lgkmcnt(1)
	v_dot2_f32_f16 v38, v0, v8, v107
	v_dot2_f32_f16 v40, v0, v9, v108
	;; [unrolled: 1-line block ×16, first 2 shown]
	ds_read_b128 v[0:3], v14 offset:8704
	s_waitcnt lgkmcnt(1)
	v_dot2_f32_f16 v75, v26, v4, v75
	v_dot2_f32_f16 v76, v26, v5, v76
	;; [unrolled: 1-line block ×16, first 2 shown]
	ds_read_b128 v[4:7], v15 offset:25088
	v_dot2_f32_f16 v59, v26, v8, v59
	v_dot2_f32_f16 v60, v26, v9, v60
	;; [unrolled: 1-line block ×16, first 2 shown]
	ds_read_b128 v[8:11], v15 offset:25344
	ds_read_b128 v[26:29], v14 offset:8960
	s_waitcnt lgkmcnt(2)
	v_dot2_f32_f16 v12, v0, v4, v12
	v_dot2_f32_f16 v13, v0, v5, v13
	;; [unrolled: 1-line block ×16, first 2 shown]
	s_waitcnt lgkmcnt(1)
	v_dot2_f32_f16 v38, v0, v8, v38
	v_dot2_f32_f16 v40, v0, v9, v40
	;; [unrolled: 1-line block ×16, first 2 shown]
	ds_read_b128 v[0:3], v14 offset:9216
	s_waitcnt lgkmcnt(1)
	v_dot2_f32_f16 v75, v26, v4, v75
	v_dot2_f32_f16 v76, v26, v5, v76
	;; [unrolled: 1-line block ×16, first 2 shown]
	ds_read_b128 v[4:7], v15 offset:25600
	v_dot2_f32_f16 v59, v26, v8, v59
	v_dot2_f32_f16 v60, v26, v9, v60
	;; [unrolled: 1-line block ×16, first 2 shown]
	ds_read_b128 v[8:11], v15 offset:25856
	ds_read_b128 v[26:29], v14 offset:9472
	s_waitcnt lgkmcnt(2)
	v_dot2_f32_f16 v12, v0, v4, v12
	v_dot2_f32_f16 v13, v0, v5, v13
	;; [unrolled: 1-line block ×16, first 2 shown]
	s_waitcnt lgkmcnt(1)
	v_dot2_f32_f16 v38, v0, v8, v38
	v_dot2_f32_f16 v40, v0, v9, v40
	;; [unrolled: 1-line block ×16, first 2 shown]
	ds_read_b128 v[0:3], v14 offset:9728
	s_waitcnt lgkmcnt(1)
	v_dot2_f32_f16 v75, v26, v4, v75
	v_dot2_f32_f16 v76, v26, v5, v76
	;; [unrolled: 1-line block ×16, first 2 shown]
	ds_read_b128 v[4:7], v15 offset:26112
	v_dot2_f32_f16 v59, v26, v8, v59
	v_dot2_f32_f16 v60, v26, v9, v60
	;; [unrolled: 1-line block ×16, first 2 shown]
	ds_read_b128 v[8:11], v15 offset:26368
	ds_read_b128 v[26:29], v14 offset:9984
	s_waitcnt lgkmcnt(2)
	v_dot2_f32_f16 v12, v0, v4, v12
	v_dot2_f32_f16 v13, v0, v5, v13
	;; [unrolled: 1-line block ×16, first 2 shown]
	s_waitcnt lgkmcnt(1)
	v_dot2_f32_f16 v38, v0, v8, v38
	v_dot2_f32_f16 v40, v0, v9, v40
	;; [unrolled: 1-line block ×16, first 2 shown]
	ds_read_b128 v[0:3], v14 offset:10240
	s_waitcnt lgkmcnt(1)
	v_dot2_f32_f16 v75, v26, v4, v75
	v_dot2_f32_f16 v76, v26, v5, v76
	;; [unrolled: 1-line block ×16, first 2 shown]
	ds_read_b128 v[4:7], v15 offset:26624
	v_dot2_f32_f16 v59, v26, v8, v59
	v_dot2_f32_f16 v60, v26, v9, v60
	;; [unrolled: 1-line block ×16, first 2 shown]
	ds_read_b128 v[8:11], v15 offset:26880
	ds_read_b128 v[26:29], v14 offset:10496
	s_waitcnt lgkmcnt(2)
	v_dot2_f32_f16 v12, v0, v4, v12
	v_dot2_f32_f16 v13, v0, v5, v13
	;; [unrolled: 1-line block ×16, first 2 shown]
	s_waitcnt lgkmcnt(1)
	v_dot2_f32_f16 v38, v0, v8, v38
	v_dot2_f32_f16 v40, v0, v9, v40
	;; [unrolled: 1-line block ×16, first 2 shown]
	ds_read_b128 v[0:3], v14 offset:10752
	s_waitcnt lgkmcnt(1)
	v_dot2_f32_f16 v75, v26, v4, v75
	v_dot2_f32_f16 v76, v26, v5, v76
	;; [unrolled: 1-line block ×16, first 2 shown]
	ds_read_b128 v[4:7], v15 offset:27136
	v_dot2_f32_f16 v59, v26, v8, v59
	v_dot2_f32_f16 v60, v26, v9, v60
	;; [unrolled: 1-line block ×16, first 2 shown]
	ds_read_b128 v[8:11], v15 offset:27392
	ds_read_b128 v[26:29], v14 offset:11008
	s_waitcnt lgkmcnt(2)
	v_dot2_f32_f16 v12, v0, v4, v12
	v_dot2_f32_f16 v13, v0, v5, v13
	;; [unrolled: 1-line block ×16, first 2 shown]
	s_waitcnt lgkmcnt(1)
	v_dot2_f32_f16 v38, v0, v8, v38
	v_dot2_f32_f16 v40, v0, v9, v40
	;; [unrolled: 1-line block ×16, first 2 shown]
	ds_read_b128 v[0:3], v14 offset:11264
	s_waitcnt lgkmcnt(1)
	v_dot2_f32_f16 v75, v26, v4, v75
	v_dot2_f32_f16 v76, v26, v5, v76
	;; [unrolled: 1-line block ×16, first 2 shown]
	ds_read_b128 v[4:7], v15 offset:27648
	v_dot2_f32_f16 v59, v26, v8, v59
	v_dot2_f32_f16 v60, v26, v9, v60
	;; [unrolled: 1-line block ×16, first 2 shown]
	ds_read_b128 v[8:11], v15 offset:27904
	ds_read_b128 v[26:29], v14 offset:11520
	s_waitcnt lgkmcnt(2)
	v_dot2_f32_f16 v12, v0, v4, v12
	v_dot2_f32_f16 v13, v0, v5, v13
	;; [unrolled: 1-line block ×16, first 2 shown]
	s_waitcnt lgkmcnt(1)
	v_dot2_f32_f16 v38, v0, v8, v38
	v_dot2_f32_f16 v40, v0, v9, v40
	;; [unrolled: 1-line block ×16, first 2 shown]
	ds_read_b128 v[0:3], v14 offset:11776
	s_waitcnt lgkmcnt(1)
	v_dot2_f32_f16 v75, v26, v4, v75
	v_dot2_f32_f16 v76, v26, v5, v76
	v_dot2_f32_f16 v77, v26, v6, v77
	v_dot2_f32_f16 v78, v26, v7, v78
	v_dot2_f32_f16 v79, v27, v4, v79
	v_dot2_f32_f16 v80, v27, v5, v80
	v_dot2_f32_f16 v81, v27, v6, v81
	v_dot2_f32_f16 v82, v27, v7, v82
	v_dot2_f32_f16 v83, v28, v4, v83
	v_dot2_f32_f16 v84, v28, v5, v84
	v_dot2_f32_f16 v85, v28, v6, v85
	v_dot2_f32_f16 v86, v28, v7, v86
	v_dot2_f32_f16 v87, v29, v4, v87
	v_dot2_f32_f16 v88, v29, v5, v88
	v_dot2_f32_f16 v89, v29, v6, v89
	v_dot2_f32_f16 v90, v29, v7, v90
	ds_read_b128 v[4:7], v15 offset:28160
	v_dot2_f32_f16 v59, v26, v8, v59
	v_dot2_f32_f16 v60, v26, v9, v60
	;; [unrolled: 1-line block ×16, first 2 shown]
	ds_read_b128 v[8:11], v15 offset:28416
	ds_read_b128 v[26:29], v14 offset:12032
	s_waitcnt lgkmcnt(2)
	v_dot2_f32_f16 v12, v0, v4, v12
	v_dot2_f32_f16 v13, v0, v5, v13
	;; [unrolled: 1-line block ×16, first 2 shown]
	s_waitcnt lgkmcnt(1)
	v_dot2_f32_f16 v38, v0, v8, v38
	v_dot2_f32_f16 v40, v0, v9, v40
	;; [unrolled: 1-line block ×16, first 2 shown]
	ds_read_b128 v[0:3], v14 offset:12288
	s_waitcnt lgkmcnt(1)
	v_dot2_f32_f16 v75, v26, v4, v75
	v_dot2_f32_f16 v76, v26, v5, v76
	;; [unrolled: 1-line block ×16, first 2 shown]
	ds_read_b128 v[4:7], v15 offset:28672
	v_dot2_f32_f16 v59, v26, v8, v59
	v_dot2_f32_f16 v60, v26, v9, v60
	;; [unrolled: 1-line block ×16, first 2 shown]
	ds_read_b128 v[8:11], v15 offset:28928
	ds_read_b128 v[26:29], v14 offset:12544
	s_waitcnt lgkmcnt(2)
	v_dot2_f32_f16 v12, v0, v4, v12
	v_dot2_f32_f16 v13, v0, v5, v13
	;; [unrolled: 1-line block ×16, first 2 shown]
	s_waitcnt lgkmcnt(1)
	v_dot2_f32_f16 v38, v0, v8, v38
	v_dot2_f32_f16 v40, v0, v9, v40
	;; [unrolled: 1-line block ×16, first 2 shown]
	ds_read_b128 v[0:3], v14 offset:12800
	s_waitcnt lgkmcnt(1)
	v_dot2_f32_f16 v75, v26, v4, v75
	v_dot2_f32_f16 v76, v26, v5, v76
	;; [unrolled: 1-line block ×16, first 2 shown]
	ds_read_b128 v[4:7], v15 offset:29184
	v_dot2_f32_f16 v59, v26, v8, v59
	v_dot2_f32_f16 v60, v26, v9, v60
	v_dot2_f32_f16 v61, v26, v10, v61
	v_dot2_f32_f16 v62, v26, v11, v62
	v_dot2_f32_f16 v63, v27, v8, v63
	v_dot2_f32_f16 v64, v27, v9, v64
	v_dot2_f32_f16 v65, v27, v10, v65
	v_dot2_f32_f16 v66, v27, v11, v66
	v_dot2_f32_f16 v67, v28, v8, v67
	v_dot2_f32_f16 v68, v28, v9, v68
	v_dot2_f32_f16 v69, v28, v10, v69
	v_dot2_f32_f16 v70, v28, v11, v70
	v_dot2_f32_f16 v71, v29, v8, v71
	v_dot2_f32_f16 v72, v29, v9, v72
	v_dot2_f32_f16 v73, v29, v10, v73
	v_dot2_f32_f16 v74, v29, v11, v74
	ds_read_b128 v[8:11], v15 offset:29440
	ds_read_b128 v[26:29], v14 offset:13056
	s_waitcnt lgkmcnt(2)
	v_dot2_f32_f16 v12, v0, v4, v12
	v_dot2_f32_f16 v13, v0, v5, v13
	;; [unrolled: 1-line block ×16, first 2 shown]
	s_waitcnt lgkmcnt(1)
	v_dot2_f32_f16 v38, v0, v8, v38
	v_dot2_f32_f16 v40, v0, v9, v40
	v_dot2_f32_f16 v41, v0, v10, v41
	v_dot2_f32_f16 v42, v0, v11, v42
	v_dot2_f32_f16 v43, v1, v8, v43
	v_dot2_f32_f16 v44, v1, v9, v44
	v_dot2_f32_f16 v47, v1, v10, v47
	v_dot2_f32_f16 v48, v1, v11, v48
	v_dot2_f32_f16 v49, v2, v8, v49
	v_dot2_f32_f16 v50, v2, v9, v50
	v_dot2_f32_f16 v51, v2, v10, v51
	v_dot2_f32_f16 v52, v2, v11, v52
	v_dot2_f32_f16 v53, v3, v8, v53
	v_dot2_f32_f16 v91, v3, v9, v91
	v_dot2_f32_f16 v92, v3, v10, v92
	v_dot2_f32_f16 v93, v3, v11, v93
	ds_read_b128 v[0:3], v14 offset:13312
	s_waitcnt lgkmcnt(1)
	v_dot2_f32_f16 v75, v26, v4, v75
	v_dot2_f32_f16 v76, v26, v5, v76
	;; [unrolled: 1-line block ×16, first 2 shown]
	ds_read_b128 v[4:7], v15 offset:29696
	v_dot2_f32_f16 v59, v26, v8, v59
	v_dot2_f32_f16 v60, v26, v9, v60
	;; [unrolled: 1-line block ×16, first 2 shown]
	ds_read_b128 v[8:11], v15 offset:29952
	ds_read_b128 v[26:29], v14 offset:13568
	s_waitcnt lgkmcnt(2)
	v_dot2_f32_f16 v12, v0, v4, v12
	v_dot2_f32_f16 v13, v0, v5, v13
	;; [unrolled: 1-line block ×16, first 2 shown]
	s_waitcnt lgkmcnt(1)
	v_dot2_f32_f16 v38, v0, v8, v38
	v_dot2_f32_f16 v40, v0, v9, v40
	;; [unrolled: 1-line block ×16, first 2 shown]
	ds_read_b128 v[0:3], v14 offset:13824
	s_waitcnt lgkmcnt(1)
	v_dot2_f32_f16 v75, v26, v4, v75
	v_dot2_f32_f16 v76, v26, v5, v76
	;; [unrolled: 1-line block ×16, first 2 shown]
	ds_read_b128 v[4:7], v15 offset:30208
	v_dot2_f32_f16 v59, v26, v8, v59
	v_dot2_f32_f16 v60, v26, v9, v60
	;; [unrolled: 1-line block ×16, first 2 shown]
	ds_read_b128 v[8:11], v15 offset:30464
	ds_read_b128 v[26:29], v14 offset:14080
	s_waitcnt lgkmcnt(2)
	v_dot2_f32_f16 v12, v0, v4, v12
	v_dot2_f32_f16 v13, v0, v5, v13
	;; [unrolled: 1-line block ×16, first 2 shown]
	s_waitcnt lgkmcnt(1)
	v_dot2_f32_f16 v38, v0, v8, v38
	v_dot2_f32_f16 v40, v0, v9, v40
	;; [unrolled: 1-line block ×16, first 2 shown]
	ds_read_b128 v[0:3], v14 offset:14336
	s_waitcnt lgkmcnt(1)
	v_dot2_f32_f16 v75, v26, v4, v75
	v_dot2_f32_f16 v76, v26, v5, v76
	;; [unrolled: 1-line block ×16, first 2 shown]
	ds_read_b128 v[4:7], v15 offset:30720
	v_dot2_f32_f16 v59, v26, v8, v59
	v_dot2_f32_f16 v60, v26, v9, v60
	;; [unrolled: 1-line block ×16, first 2 shown]
	ds_read_b128 v[8:11], v15 offset:30976
	ds_read_b128 v[26:29], v14 offset:14592
	s_waitcnt lgkmcnt(2)
	v_dot2_f32_f16 v12, v0, v4, v12
	v_dot2_f32_f16 v13, v0, v5, v13
	;; [unrolled: 1-line block ×16, first 2 shown]
	s_waitcnt lgkmcnt(1)
	v_dot2_f32_f16 v38, v0, v8, v38
	v_dot2_f32_f16 v40, v0, v9, v40
	;; [unrolled: 1-line block ×16, first 2 shown]
	ds_read_b128 v[0:3], v14 offset:14848
	s_waitcnt lgkmcnt(1)
	v_dot2_f32_f16 v75, v26, v4, v75
	v_dot2_f32_f16 v76, v26, v5, v76
	;; [unrolled: 1-line block ×16, first 2 shown]
	ds_read_b128 v[4:7], v15 offset:31232
	v_dot2_f32_f16 v59, v26, v8, v59
	v_dot2_f32_f16 v60, v26, v9, v60
	;; [unrolled: 1-line block ×16, first 2 shown]
	ds_read_b128 v[8:11], v15 offset:31488
	ds_read_b128 v[26:29], v14 offset:15104
	s_waitcnt lgkmcnt(2)
	v_dot2_f32_f16 v12, v0, v4, v12
	v_dot2_f32_f16 v13, v0, v5, v13
	;; [unrolled: 1-line block ×16, first 2 shown]
	s_waitcnt lgkmcnt(1)
	v_dot2_f32_f16 v38, v0, v8, v38
	v_dot2_f32_f16 v40, v0, v9, v40
	;; [unrolled: 1-line block ×16, first 2 shown]
	ds_read_b128 v[0:3], v14 offset:15360
	ds_read_b128 v[50:53], v15 offset:31744
	s_waitcnt lgkmcnt(2)
	v_dot2_f32_f16 v106, v26, v4, v75
	v_dot2_f32_f16 v107, v26, v5, v76
	;; [unrolled: 1-line block ×32, first 2 shown]
	ds_read_b128 v[4:7], v15 offset:32000
	ds_read_b128 v[8:11], v14 offset:15616
	s_waitcnt lgkmcnt(2)
	v_dot2_f32_f16 v75, v0, v50, v12
	v_dot2_f32_f16 v76, v0, v51, v13
	;; [unrolled: 1-line block ×16, first 2 shown]
	s_waitcnt lgkmcnt(1)
	v_dot2_f32_f16 v91, v0, v4, v38
	v_dot2_f32_f16 v92, v0, v5, v40
	;; [unrolled: 1-line block ×16, first 2 shown]
	ds_read_b128 v[0:3], v14 offset:15872
	ds_read_b128 v[20:23], v15 offset:32256
	s_waitcnt lgkmcnt(2)
	v_dot2_f32_f16 v17, v8, v50, v106
	v_dot2_f32_f16 v24, v8, v51, v107
	;; [unrolled: 1-line block ×32, first 2 shown]
	ds_read_b128 v[4:7], v15 offset:32512
	ds_read_b128 v[8:11], v14 offset:16128
	s_waitcnt lgkmcnt(2)
	v_dot2_f32_f16 v122, v0, v20, v75
	v_dot2_f32_f16 v121, v0, v21, v76
	;; [unrolled: 1-line block ×16, first 2 shown]
	s_waitcnt lgkmcnt(1)
	v_dot2_f32_f16 v114, v0, v4, v91
	v_dot2_f32_f16 v105, v0, v5, v92
	;; [unrolled: 1-line block ×8, first 2 shown]
	buffer_load_dword v1, off, s[60:63], 0 offset:40 ; 4-byte Folded Reload
	buffer_load_dword v0, off, s[60:63], 0 offset:4 ; 4-byte Folded Reload
	v_dot2_f32_f16 v98, v2, v4, v123
	v_dot2_f32_f16 v97, v2, v5, v124
	;; [unrolled: 1-line block ×8, first 2 shown]
	s_waitcnt lgkmcnt(0)
	v_dot2_f32_f16 v83, v8, v20, v17
	v_dot2_f32_f16 v82, v8, v21, v24
	;; [unrolled: 1-line block ×5, first 2 shown]
	buffer_load_dword v31, off, s[60:63], 0 offset:80 ; 4-byte Folded Reload
	v_dot2_f32_f16 v74, v10, v21, v19
	buffer_load_dword v19, off, s[60:63], 0 ; 4-byte Folded Reload
	v_dot2_f32_f16 v73, v8, v4, v25
	v_dot2_f32_f16 v71, v8, v5, v35
	v_dot2_f32_f16 v69, v8, v6, v36
	v_dot2_f32_f16 v68, v8, v7, v38
	buffer_load_dword v8, off, s[60:63], 0 offset:28 ; 4-byte Folded Reload
	v_dot2_f32_f16 v67, v9, v4, v40
	v_dot2_f32_f16 v66, v9, v5, v41
	;; [unrolled: 1-line block ×8, first 2 shown]
	buffer_load_dword v4, off, s[60:63], 0 offset:32 ; 4-byte Folded Reload
	v_dot2_f32_f16 v85, v11, v5, v54
	buffer_load_dword v5, off, s[60:63], 0 offset:36 ; 4-byte Folded Reload
	v_dot2_f32_f16 v87, v11, v7, v56
	buffer_load_dword v7, off, s[60:63], 0 offset:24 ; 4-byte Folded Reload
	buffer_load_dword v2, off, s[60:63], 0 offset:72 ; 4-byte Folded Reload
	;; [unrolled: 1-line block ×3, first 2 shown]
	v_dot2_f32_f16 v79, v9, v20, v28
	v_dot2_f32_f16 v78, v9, v21, v29
	;; [unrolled: 1-line block ×12, first 2 shown]
	s_waitcnt vmcnt(9)
	v_add_u32_e32 v1, s57, v1
	s_waitcnt vmcnt(8)
	v_add_u32_e32 v0, s57, v0
	;; [unrolled: 2-line block ×6, first 2 shown]
	v_add_u32_e32 v5, s57, v5
	s_waitcnt vmcnt(0)
	ds_write2st64_b32 v16, v3, v2 offset1:2
	buffer_load_dword v2, off, s[60:63], 0 offset:64 ; 4-byte Folded Reload
	buffer_load_dword v3, off, s[60:63], 0 offset:68 ; 4-byte Folded Reload
	s_waitcnt vmcnt(0)
	ds_write2st64_b32 v16, v3, v2 offset0:4 offset1:6
	buffer_load_dword v2, off, s[60:63], 0 offset:92 ; 4-byte Folded Reload
	buffer_load_dword v3, off, s[60:63], 0 offset:96 ; 4-byte Folded Reload
	s_waitcnt vmcnt(0)
	ds_write2st64_b32 v16, v3, v2 offset0:8 offset1:10
	;; [unrolled: 4-line block ×7, first 2 shown]
	buffer_store_dword v57, off, s[60:63], 0 offset:12 ; 4-byte Folded Spill
	buffer_store_dword v58, off, s[60:63], 0 offset:16 ; 4-byte Folded Spill
	s_cbranch_scc1 .LBB1_1
; %bb.2:
	buffer_load_dword v4, off, s[60:63], 0 offset:156 ; 4-byte Folded Reload
	s_load_dwordx2 s[2:3], s[4:5], 0x10
	s_mul_i32 s4, s26, s54
	s_mul_hi_u32 s5, s26, s53
	s_add_i32 s4, s5, s4
	s_mul_i32 s5, s27, s53
	s_add_i32 s5, s4, s5
	s_mul_i32 s4, s26, s53
	s_lshl_b64 s[4:5], s[4:5], 1
	s_add_u32 s16, s46, s4
	s_addc_u32 s46, s47, s5
	s_mul_i32 s4, s24, s54
	s_mul_hi_u32 s5, s24, s53
	s_add_i32 s4, s5, s4
	s_mul_i32 s5, s25, s53
	s_add_i32 s5, s4, s5
	s_mul_i32 s4, s24, s53
	s_lshl_b64 s[4:5], s[4:5], 1
	s_waitcnt lgkmcnt(0)
	s_add_u32 s24, s2, s4
	s_addc_u32 s25, s3, s5
	s_add_i32 s41, s41, s37
	s_lshl_b32 s26, s40, 1
	s_and_b32 s25, s25, 0xffff
	s_mov_b32 s27, 0x20000
	s_waitcnt vmcnt(0)
	v_add_u32_e32 v2, s41, v4
	v_mul_hi_u32 v0, v2, s52
	v_add_u32_e32 v38, s45, v2
	v_cmp_gt_i32_e64 s[6:7], s11, v2
	v_cmp_gt_i32_e64 s[8:9], s11, v38
	v_add_u32_e32 v0, v2, v0
	v_lshrrev_b32_e32 v1, s51, v0
	v_mul_lo_u32 v0, v1, s50
	v_sub_u32_e32 v3, v1, v39
	v_mul_lo_u32 v11, v3, s44
	v_add3_u32 v3, v4, v33, s37
	v_sub_u32_e32 v0, v2, v0
	v_sub_u32_e32 v3, v0, v3
	v_mul_lo_u32 v4, v11, s13
	v_mul_lo_u32 v3, v3, s14
	v_add3_u32 v12, v3, v4, v34
	buffer_load_dword v3, off, s[60:63], 0 offset:8 ; 4-byte Folded Reload
	v_lshlrev_b32_e32 v17, 1, v12
	s_waitcnt vmcnt(0)
	v_add_u32_e32 v13, s10, v3
	buffer_load_dword v3, off, s[60:63], 0 offset:160 ; 4-byte Folded Reload
	s_waitcnt vmcnt(0) lgkmcnt(0)
	s_barrier
	buffer_load_dwordx4 v[17:20], v17, s[20:23], 0 offen
	v_add_u32_e32 v7, v13, v3
	v_mul_hi_u32 v3, v38, s52
	v_add_u32_e32 v3, v38, v3
	v_lshrrev_b32_e32 v8, s51, v3
	v_sub_u32_e32 v1, v8, v1
	v_mul_lo_u32 v43, v1, s44
	v_mad_u64_u32 v[0:1], s[2:3], v8, s50, v[0:1]
	v_lshlrev_b32_e32 v3, 1, v7
	v_add_lshl_u32 v1, v7, s12, 1
	buffer_load_dwordx4 v[3:6], v3, s[28:31], 0 offen
	v_sub_u32_e32 v0, v38, v0
	buffer_load_dwordx4 v[7:10], v1, s[28:31], 0 offen
	v_mul_lo_u32 v1, v43, s13
	v_mad_u64_u32 v[0:1], s[2:3], v0, s14, v[1:2]
	v_cmp_gt_i32_e64 s[2:3], s49, v13
	s_and_b64 s[2:3], s[0:1], s[2:3]
	v_add_lshl_u32 v0, v0, v12, 1
	buffer_load_dwordx4 v[21:24], v0, s[20:23], 0 offen
	v_add_u32_e32 v0, s12, v13
	v_cmp_gt_i32_e64 s[4:5], s49, v0
	v_add_u32_e32 v0, v11, v37
	ds_read_b128 v[25:28], v15 offset:16384
	ds_read_b128 v[29:32], v15 offset:16640
	ds_read_b128 v[33:36], v14
	ds_read_b128 v[39:42], v14 offset:256
	v_cmp_le_i32_e64 s[10:11], s48, v0
	v_cmp_gt_i32_e64 s[12:13], s18, v0
	v_add_u32_e32 v0, v43, v0
	s_and_b64 s[20:21], s[12:13], s[6:7]
	v_cmp_gt_i32_e64 s[12:13], s18, v0
	v_cmp_le_i32_e64 s[6:7], s48, v0
	s_and_b64 s[8:9], s[12:13], s[8:9]
	s_and_b64 s[10:11], s[20:21], s[10:11]
	;; [unrolled: 1-line block ×4, first 2 shown]
	s_waitcnt lgkmcnt(1)
	v_dot2_f32_f16 v12, v33, v25, v122
	v_dot2_f32_f16 v13, v33, v26, v121
	;; [unrolled: 1-line block ×32, first 2 shown]
	s_waitcnt lgkmcnt(0)
	v_dot2_f32_f16 v83, v39, v25, v83
	v_dot2_f32_f16 v82, v39, v26, v82
	;; [unrolled: 1-line block ×21, first 2 shown]
	s_waitcnt vmcnt(2)
	v_cndmask_b32_e64 v0, 0, v6, s[2:3]
	v_cndmask_b32_e64 v1, 0, v5, s[2:3]
	;; [unrolled: 1-line block ×4, first 2 shown]
	s_waitcnt vmcnt(1)
	v_cndmask_b32_e64 v3, 0, v10, s[0:1]
	v_cndmask_b32_e64 v5, 0, v9, s[0:1]
	;; [unrolled: 1-line block ×4, first 2 shown]
	s_and_b64 s[0:1], vcc, s[10:11]
	s_and_b64 vcc, vcc, s[6:7]
	v_cndmask_b32_e64 v8, 0, v20, s[0:1]
	v_cndmask_b32_e64 v9, 0, v19, s[0:1]
	;; [unrolled: 1-line block ×3, first 2 shown]
	s_waitcnt vmcnt(0)
	v_cndmask_b32_e32 v11, 0, v24, vcc
	v_cndmask_b32_e32 v18, 0, v23, vcc
	;; [unrolled: 1-line block ×4, first 2 shown]
	ds_read_b128 v[21:24], v14 offset:512
	ds_read_b128 v[25:28], v15 offset:16896
	v_dot2_f32_f16 v66, v40, v30, v66
	v_dot2_f32_f16 v65, v40, v31, v65
	;; [unrolled: 1-line block ×11, first 2 shown]
	ds_read_b128 v[29:32], v15 offset:17152
	ds_read_b128 v[33:36], v14 offset:768
	s_waitcnt lgkmcnt(2)
	v_dot2_f32_f16 v12, v21, v25, v12
	v_dot2_f32_f16 v13, v21, v26, v13
	;; [unrolled: 1-line block ×16, first 2 shown]
	s_waitcnt lgkmcnt(1)
	v_dot2_f32_f16 v58, v21, v29, v58
	v_dot2_f32_f16 v37, v21, v30, v37
	;; [unrolled: 1-line block ×16, first 2 shown]
	ds_read_b128 v[21:24], v14 offset:1024
	s_waitcnt lgkmcnt(1)
	v_dot2_f32_f16 v83, v33, v25, v83
	v_dot2_f32_f16 v82, v33, v26, v82
	;; [unrolled: 1-line block ×16, first 2 shown]
	ds_read_b128 v[25:28], v15 offset:17408
	v_dot2_f32_f16 v73, v33, v29, v73
	v_dot2_f32_f16 v71, v33, v30, v71
	;; [unrolled: 1-line block ×16, first 2 shown]
	ds_read_b128 v[29:32], v15 offset:17664
	ds_read_b128 v[33:36], v14 offset:1280
	s_waitcnt lgkmcnt(2)
	v_dot2_f32_f16 v12, v21, v25, v12
	v_dot2_f32_f16 v13, v21, v26, v13
	;; [unrolled: 1-line block ×16, first 2 shown]
	s_waitcnt lgkmcnt(1)
	v_dot2_f32_f16 v58, v21, v29, v58
	v_dot2_f32_f16 v37, v21, v30, v37
	;; [unrolled: 1-line block ×16, first 2 shown]
	ds_read_b128 v[21:24], v14 offset:1536
	s_waitcnt lgkmcnt(1)
	v_dot2_f32_f16 v83, v33, v25, v83
	v_dot2_f32_f16 v82, v33, v26, v82
	;; [unrolled: 1-line block ×16, first 2 shown]
	ds_read_b128 v[25:28], v15 offset:17920
	v_dot2_f32_f16 v73, v33, v29, v73
	v_dot2_f32_f16 v71, v33, v30, v71
	;; [unrolled: 1-line block ×16, first 2 shown]
	ds_read_b128 v[29:32], v15 offset:18176
	ds_read_b128 v[33:36], v14 offset:1792
	s_waitcnt lgkmcnt(2)
	v_dot2_f32_f16 v12, v21, v25, v12
	v_dot2_f32_f16 v13, v21, v26, v13
	;; [unrolled: 1-line block ×16, first 2 shown]
	s_waitcnt lgkmcnt(1)
	v_dot2_f32_f16 v58, v21, v29, v58
	v_dot2_f32_f16 v37, v21, v30, v37
	;; [unrolled: 1-line block ×16, first 2 shown]
	ds_read_b128 v[21:24], v14 offset:2048
	s_waitcnt lgkmcnt(1)
	v_dot2_f32_f16 v83, v33, v25, v83
	v_dot2_f32_f16 v82, v33, v26, v82
	v_dot2_f32_f16 v81, v33, v27, v81
	v_dot2_f32_f16 v80, v33, v28, v80
	v_dot2_f32_f16 v79, v34, v25, v79
	v_dot2_f32_f16 v78, v34, v26, v78
	v_dot2_f32_f16 v77, v34, v27, v77
	v_dot2_f32_f16 v76, v34, v28, v76
	v_dot2_f32_f16 v75, v35, v25, v75
	v_dot2_f32_f16 v74, v35, v26, v74
	v_dot2_f32_f16 v72, v35, v27, v72
	v_dot2_f32_f16 v70, v35, v28, v70
	v_dot2_f32_f16 v63, v36, v25, v63
	v_dot2_f32_f16 v93, v36, v26, v93
	v_dot2_f32_f16 v94, v36, v27, v94
	v_dot2_f32_f16 v95, v36, v28, v95
	ds_read_b128 v[25:28], v15 offset:18432
	v_dot2_f32_f16 v73, v33, v29, v73
	v_dot2_f32_f16 v71, v33, v30, v71
	;; [unrolled: 1-line block ×16, first 2 shown]
	ds_read_b128 v[29:32], v15 offset:18688
	ds_read_b128 v[33:36], v14 offset:2304
	s_waitcnt lgkmcnt(2)
	v_dot2_f32_f16 v12, v21, v25, v12
	v_dot2_f32_f16 v13, v21, v26, v13
	;; [unrolled: 1-line block ×16, first 2 shown]
	s_waitcnt lgkmcnt(1)
	v_dot2_f32_f16 v58, v21, v29, v58
	v_dot2_f32_f16 v37, v21, v30, v37
	v_dot2_f32_f16 v38, v21, v31, v38
	v_dot2_f32_f16 v43, v21, v32, v43
	v_dot2_f32_f16 v84, v22, v29, v84
	v_dot2_f32_f16 v85, v22, v30, v85
	v_dot2_f32_f16 v86, v22, v31, v86
	v_dot2_f32_f16 v87, v22, v32, v87
	v_dot2_f32_f16 v98, v23, v29, v98
	v_dot2_f32_f16 v97, v23, v30, v97
	v_dot2_f32_f16 v96, v23, v31, v96
	v_dot2_f32_f16 v92, v23, v32, v92
	v_dot2_f32_f16 v91, v24, v29, v91
	v_dot2_f32_f16 v90, v24, v30, v90
	v_dot2_f32_f16 v89, v24, v31, v89
	v_dot2_f32_f16 v88, v24, v32, v88
	ds_read_b128 v[21:24], v14 offset:2560
	s_waitcnt lgkmcnt(1)
	v_dot2_f32_f16 v83, v33, v25, v83
	v_dot2_f32_f16 v82, v33, v26, v82
	;; [unrolled: 1-line block ×16, first 2 shown]
	ds_read_b128 v[25:28], v15 offset:18944
	v_dot2_f32_f16 v73, v33, v29, v73
	v_dot2_f32_f16 v71, v33, v30, v71
	;; [unrolled: 1-line block ×16, first 2 shown]
	ds_read_b128 v[29:32], v15 offset:19200
	ds_read_b128 v[33:36], v14 offset:2816
	s_waitcnt lgkmcnt(2)
	v_dot2_f32_f16 v12, v21, v25, v12
	v_dot2_f32_f16 v13, v21, v26, v13
	;; [unrolled: 1-line block ×16, first 2 shown]
	s_waitcnt lgkmcnt(1)
	v_dot2_f32_f16 v58, v21, v29, v58
	v_dot2_f32_f16 v37, v21, v30, v37
	;; [unrolled: 1-line block ×16, first 2 shown]
	ds_read_b128 v[21:24], v14 offset:3072
	s_waitcnt lgkmcnt(1)
	v_dot2_f32_f16 v83, v33, v25, v83
	v_dot2_f32_f16 v82, v33, v26, v82
	v_dot2_f32_f16 v81, v33, v27, v81
	v_dot2_f32_f16 v80, v33, v28, v80
	v_dot2_f32_f16 v79, v34, v25, v79
	v_dot2_f32_f16 v78, v34, v26, v78
	v_dot2_f32_f16 v77, v34, v27, v77
	v_dot2_f32_f16 v76, v34, v28, v76
	v_dot2_f32_f16 v75, v35, v25, v75
	v_dot2_f32_f16 v74, v35, v26, v74
	v_dot2_f32_f16 v72, v35, v27, v72
	v_dot2_f32_f16 v70, v35, v28, v70
	v_dot2_f32_f16 v63, v36, v25, v63
	v_dot2_f32_f16 v93, v36, v26, v93
	v_dot2_f32_f16 v94, v36, v27, v94
	v_dot2_f32_f16 v95, v36, v28, v95
	ds_read_b128 v[25:28], v15 offset:19456
	v_dot2_f32_f16 v73, v33, v29, v73
	v_dot2_f32_f16 v71, v33, v30, v71
	;; [unrolled: 1-line block ×16, first 2 shown]
	ds_read_b128 v[29:32], v15 offset:19712
	ds_read_b128 v[33:36], v14 offset:3328
	s_waitcnt lgkmcnt(2)
	v_dot2_f32_f16 v12, v21, v25, v12
	v_dot2_f32_f16 v13, v21, v26, v13
	;; [unrolled: 1-line block ×16, first 2 shown]
	s_waitcnt lgkmcnt(1)
	v_dot2_f32_f16 v58, v21, v29, v58
	v_dot2_f32_f16 v37, v21, v30, v37
	;; [unrolled: 1-line block ×16, first 2 shown]
	ds_read_b128 v[21:24], v14 offset:3584
	s_waitcnt lgkmcnt(1)
	v_dot2_f32_f16 v83, v33, v25, v83
	v_dot2_f32_f16 v82, v33, v26, v82
	;; [unrolled: 1-line block ×16, first 2 shown]
	ds_read_b128 v[25:28], v15 offset:19968
	v_dot2_f32_f16 v73, v33, v29, v73
	v_dot2_f32_f16 v71, v33, v30, v71
	;; [unrolled: 1-line block ×16, first 2 shown]
	ds_read_b128 v[29:32], v15 offset:20224
	ds_read_b128 v[33:36], v14 offset:3840
	s_waitcnt lgkmcnt(2)
	v_dot2_f32_f16 v12, v21, v25, v12
	v_dot2_f32_f16 v13, v21, v26, v13
	;; [unrolled: 1-line block ×16, first 2 shown]
	s_waitcnt lgkmcnt(1)
	v_dot2_f32_f16 v58, v21, v29, v58
	v_dot2_f32_f16 v37, v21, v30, v37
	;; [unrolled: 1-line block ×16, first 2 shown]
	ds_read_b128 v[21:24], v14 offset:4096
	s_waitcnt lgkmcnt(1)
	v_dot2_f32_f16 v83, v33, v25, v83
	v_dot2_f32_f16 v82, v33, v26, v82
	;; [unrolled: 1-line block ×16, first 2 shown]
	ds_read_b128 v[25:28], v15 offset:20480
	v_dot2_f32_f16 v73, v33, v29, v73
	v_dot2_f32_f16 v71, v33, v30, v71
	;; [unrolled: 1-line block ×16, first 2 shown]
	ds_read_b128 v[29:32], v15 offset:20736
	ds_read_b128 v[33:36], v14 offset:4352
	s_waitcnt lgkmcnt(2)
	v_dot2_f32_f16 v12, v21, v25, v12
	v_dot2_f32_f16 v13, v21, v26, v13
	;; [unrolled: 1-line block ×16, first 2 shown]
	s_waitcnt lgkmcnt(1)
	v_dot2_f32_f16 v58, v21, v29, v58
	v_dot2_f32_f16 v37, v21, v30, v37
	;; [unrolled: 1-line block ×16, first 2 shown]
	ds_read_b128 v[21:24], v14 offset:4608
	s_waitcnt lgkmcnt(1)
	v_dot2_f32_f16 v83, v33, v25, v83
	v_dot2_f32_f16 v82, v33, v26, v82
	;; [unrolled: 1-line block ×16, first 2 shown]
	ds_read_b128 v[25:28], v15 offset:20992
	v_dot2_f32_f16 v73, v33, v29, v73
	v_dot2_f32_f16 v71, v33, v30, v71
	v_dot2_f32_f16 v69, v33, v31, v69
	v_dot2_f32_f16 v39, v33, v32, v39
	v_dot2_f32_f16 v67, v34, v29, v67
	v_dot2_f32_f16 v66, v34, v30, v66
	v_dot2_f32_f16 v65, v34, v31, v65
	v_dot2_f32_f16 v40, v34, v32, v40
	v_dot2_f32_f16 v62, v35, v29, v62
	v_dot2_f32_f16 v61, v35, v30, v61
	v_dot2_f32_f16 v60, v35, v31, v60
	v_dot2_f32_f16 v41, v35, v32, v41
	v_dot2_f32_f16 v59, v36, v29, v59
	v_dot2_f32_f16 v64, v36, v30, v64
	v_dot2_f32_f16 v68, v36, v31, v68
	v_dot2_f32_f16 v42, v36, v32, v42
	ds_read_b128 v[29:32], v15 offset:21248
	ds_read_b128 v[33:36], v14 offset:4864
	s_waitcnt lgkmcnt(2)
	v_dot2_f32_f16 v12, v21, v25, v12
	v_dot2_f32_f16 v13, v21, v26, v13
	;; [unrolled: 1-line block ×16, first 2 shown]
	s_waitcnt lgkmcnt(1)
	v_dot2_f32_f16 v58, v21, v29, v58
	v_dot2_f32_f16 v37, v21, v30, v37
	;; [unrolled: 1-line block ×16, first 2 shown]
	ds_read_b128 v[21:24], v14 offset:5120
	s_waitcnt lgkmcnt(1)
	v_dot2_f32_f16 v83, v33, v25, v83
	v_dot2_f32_f16 v82, v33, v26, v82
	;; [unrolled: 1-line block ×16, first 2 shown]
	ds_read_b128 v[25:28], v15 offset:21504
	v_dot2_f32_f16 v73, v33, v29, v73
	v_dot2_f32_f16 v71, v33, v30, v71
	;; [unrolled: 1-line block ×16, first 2 shown]
	ds_read_b128 v[29:32], v15 offset:21760
	ds_read_b128 v[33:36], v14 offset:5376
	s_waitcnt lgkmcnt(2)
	v_dot2_f32_f16 v12, v21, v25, v12
	v_dot2_f32_f16 v13, v21, v26, v13
	;; [unrolled: 1-line block ×16, first 2 shown]
	s_waitcnt lgkmcnt(1)
	v_dot2_f32_f16 v58, v21, v29, v58
	v_dot2_f32_f16 v37, v21, v30, v37
	;; [unrolled: 1-line block ×16, first 2 shown]
	ds_read_b128 v[21:24], v14 offset:5632
	s_waitcnt lgkmcnt(1)
	v_dot2_f32_f16 v83, v33, v25, v83
	v_dot2_f32_f16 v82, v33, v26, v82
	;; [unrolled: 1-line block ×16, first 2 shown]
	ds_read_b128 v[25:28], v15 offset:22016
	v_dot2_f32_f16 v73, v33, v29, v73
	v_dot2_f32_f16 v71, v33, v30, v71
	;; [unrolled: 1-line block ×16, first 2 shown]
	ds_read_b128 v[29:32], v15 offset:22272
	ds_read_b128 v[33:36], v14 offset:5888
	s_waitcnt lgkmcnt(2)
	v_dot2_f32_f16 v12, v21, v25, v12
	v_dot2_f32_f16 v13, v21, v26, v13
	;; [unrolled: 1-line block ×16, first 2 shown]
	s_waitcnt lgkmcnt(1)
	v_dot2_f32_f16 v58, v21, v29, v58
	v_dot2_f32_f16 v37, v21, v30, v37
	;; [unrolled: 1-line block ×16, first 2 shown]
	ds_read_b128 v[21:24], v14 offset:6144
	s_waitcnt lgkmcnt(1)
	v_dot2_f32_f16 v83, v33, v25, v83
	v_dot2_f32_f16 v82, v33, v26, v82
	;; [unrolled: 1-line block ×16, first 2 shown]
	ds_read_b128 v[25:28], v15 offset:22528
	v_dot2_f32_f16 v73, v33, v29, v73
	v_dot2_f32_f16 v71, v33, v30, v71
	v_dot2_f32_f16 v69, v33, v31, v69
	v_dot2_f32_f16 v39, v33, v32, v39
	v_dot2_f32_f16 v67, v34, v29, v67
	v_dot2_f32_f16 v66, v34, v30, v66
	v_dot2_f32_f16 v65, v34, v31, v65
	v_dot2_f32_f16 v40, v34, v32, v40
	v_dot2_f32_f16 v62, v35, v29, v62
	v_dot2_f32_f16 v61, v35, v30, v61
	v_dot2_f32_f16 v60, v35, v31, v60
	v_dot2_f32_f16 v41, v35, v32, v41
	v_dot2_f32_f16 v59, v36, v29, v59
	v_dot2_f32_f16 v64, v36, v30, v64
	v_dot2_f32_f16 v68, v36, v31, v68
	v_dot2_f32_f16 v42, v36, v32, v42
	ds_read_b128 v[29:32], v15 offset:22784
	ds_read_b128 v[33:36], v14 offset:6400
	s_waitcnt lgkmcnt(2)
	v_dot2_f32_f16 v12, v21, v25, v12
	v_dot2_f32_f16 v13, v21, v26, v13
	;; [unrolled: 1-line block ×16, first 2 shown]
	s_waitcnt lgkmcnt(1)
	v_dot2_f32_f16 v58, v21, v29, v58
	v_dot2_f32_f16 v37, v21, v30, v37
	;; [unrolled: 1-line block ×16, first 2 shown]
	ds_read_b128 v[21:24], v14 offset:6656
	s_waitcnt lgkmcnt(1)
	v_dot2_f32_f16 v83, v33, v25, v83
	v_dot2_f32_f16 v82, v33, v26, v82
	;; [unrolled: 1-line block ×16, first 2 shown]
	ds_read_b128 v[25:28], v15 offset:23040
	v_dot2_f32_f16 v73, v33, v29, v73
	v_dot2_f32_f16 v71, v33, v30, v71
	;; [unrolled: 1-line block ×16, first 2 shown]
	ds_read_b128 v[29:32], v15 offset:23296
	ds_read_b128 v[33:36], v14 offset:6912
	s_waitcnt lgkmcnt(2)
	v_dot2_f32_f16 v12, v21, v25, v12
	v_dot2_f32_f16 v13, v21, v26, v13
	;; [unrolled: 1-line block ×16, first 2 shown]
	s_waitcnt lgkmcnt(1)
	v_dot2_f32_f16 v58, v21, v29, v58
	v_dot2_f32_f16 v37, v21, v30, v37
	;; [unrolled: 1-line block ×16, first 2 shown]
	ds_read_b128 v[21:24], v14 offset:7168
	s_waitcnt lgkmcnt(1)
	v_dot2_f32_f16 v83, v33, v25, v83
	v_dot2_f32_f16 v82, v33, v26, v82
	;; [unrolled: 1-line block ×16, first 2 shown]
	ds_read_b128 v[25:28], v15 offset:23552
	v_dot2_f32_f16 v73, v33, v29, v73
	v_dot2_f32_f16 v71, v33, v30, v71
	;; [unrolled: 1-line block ×16, first 2 shown]
	ds_read_b128 v[29:32], v15 offset:23808
	ds_read_b128 v[33:36], v14 offset:7424
	v_cndmask_b32_e64 v17, 0, v17, s[0:1]
	s_waitcnt lgkmcnt(2)
	v_dot2_f32_f16 v12, v21, v25, v12
	v_dot2_f32_f16 v13, v21, v26, v13
	;; [unrolled: 1-line block ×16, first 2 shown]
	s_waitcnt lgkmcnt(1)
	v_dot2_f32_f16 v58, v21, v29, v58
	v_dot2_f32_f16 v37, v21, v30, v37
	;; [unrolled: 1-line block ×16, first 2 shown]
	ds_read_b128 v[21:24], v14 offset:7680
	s_waitcnt lgkmcnt(1)
	v_dot2_f32_f16 v83, v33, v25, v83
	v_dot2_f32_f16 v82, v33, v26, v82
	;; [unrolled: 1-line block ×16, first 2 shown]
	ds_read_b128 v[25:28], v15 offset:24064
	v_dot2_f32_f16 v73, v33, v29, v73
	v_dot2_f32_f16 v71, v33, v30, v71
	;; [unrolled: 1-line block ×16, first 2 shown]
	ds_read_b128 v[29:32], v15 offset:24320
	ds_read_b128 v[33:36], v14 offset:7936
	ds_write2st64_b32 v16, v17, v10 offset0:32 offset1:34
	ds_write2st64_b32 v16, v9, v8 offset0:36 offset1:38
	;; [unrolled: 1-line block ×8, first 2 shown]
	s_waitcnt lgkmcnt(0)
	s_barrier
	ds_read_b128 v[0:3], v14 offset:8192
	ds_read_b128 v[4:7], v15 offset:24576
	;; [unrolled: 1-line block ×4, first 2 shown]
	v_dot2_f32_f16 v12, v21, v25, v12
	v_dot2_f32_f16 v13, v21, v26, v13
	;; [unrolled: 1-line block ×64, first 2 shown]
	s_waitcnt lgkmcnt(2)
	v_dot2_f32_f16 v12, v0, v4, v12
	v_dot2_f32_f16 v13, v0, v5, v13
	;; [unrolled: 1-line block ×16, first 2 shown]
	s_waitcnt lgkmcnt(1)
	v_dot2_f32_f16 v54, v0, v8, v58
	v_dot2_f32_f16 v37, v0, v9, v37
	;; [unrolled: 1-line block ×16, first 2 shown]
	ds_read_b128 v[0:3], v14 offset:8704
	s_waitcnt lgkmcnt(1)
	v_dot2_f32_f16 v68, v16, v4, v83
	v_dot2_f32_f16 v73, v16, v5, v82
	;; [unrolled: 1-line block ×16, first 2 shown]
	ds_read_b128 v[4:7], v15 offset:25088
	v_dot2_f32_f16 v63, v16, v8, v63
	v_dot2_f32_f16 v71, v16, v9, v71
	;; [unrolled: 1-line block ×16, first 2 shown]
	ds_read_b128 v[8:11], v15 offset:25344
	ds_read_b128 v[16:19], v14 offset:8960
	s_waitcnt lgkmcnt(2)
	v_dot2_f32_f16 v12, v0, v4, v12
	v_dot2_f32_f16 v13, v0, v5, v13
	;; [unrolled: 1-line block ×16, first 2 shown]
	s_waitcnt lgkmcnt(1)
	v_dot2_f32_f16 v54, v0, v8, v54
	v_dot2_f32_f16 v37, v0, v9, v37
	;; [unrolled: 1-line block ×16, first 2 shown]
	ds_read_b128 v[0:3], v14 offset:9216
	s_waitcnt lgkmcnt(1)
	v_dot2_f32_f16 v68, v16, v4, v68
	v_dot2_f32_f16 v73, v16, v5, v73
	;; [unrolled: 1-line block ×16, first 2 shown]
	ds_read_b128 v[4:7], v15 offset:25600
	v_dot2_f32_f16 v63, v16, v8, v63
	v_dot2_f32_f16 v71, v16, v9, v71
	;; [unrolled: 1-line block ×16, first 2 shown]
	ds_read_b128 v[8:11], v15 offset:25856
	ds_read_b128 v[16:19], v14 offset:9472
	s_waitcnt lgkmcnt(2)
	v_dot2_f32_f16 v12, v0, v4, v12
	v_dot2_f32_f16 v13, v0, v5, v13
	;; [unrolled: 1-line block ×16, first 2 shown]
	s_waitcnt lgkmcnt(1)
	v_dot2_f32_f16 v54, v0, v8, v54
	v_dot2_f32_f16 v37, v0, v9, v37
	;; [unrolled: 1-line block ×16, first 2 shown]
	ds_read_b128 v[0:3], v14 offset:9728
	s_waitcnt lgkmcnt(1)
	v_dot2_f32_f16 v68, v16, v4, v68
	v_dot2_f32_f16 v73, v16, v5, v73
	;; [unrolled: 1-line block ×16, first 2 shown]
	ds_read_b128 v[4:7], v15 offset:26112
	v_dot2_f32_f16 v63, v16, v8, v63
	v_dot2_f32_f16 v71, v16, v9, v71
	;; [unrolled: 1-line block ×16, first 2 shown]
	ds_read_b128 v[8:11], v15 offset:26368
	ds_read_b128 v[16:19], v14 offset:9984
	s_waitcnt lgkmcnt(2)
	v_dot2_f32_f16 v12, v0, v4, v12
	v_dot2_f32_f16 v13, v0, v5, v13
	;; [unrolled: 1-line block ×16, first 2 shown]
	s_waitcnt lgkmcnt(1)
	v_dot2_f32_f16 v54, v0, v8, v54
	v_dot2_f32_f16 v37, v0, v9, v37
	v_dot2_f32_f16 v38, v0, v10, v38
	v_dot2_f32_f16 v21, v0, v11, v21
	v_dot2_f32_f16 v43, v1, v8, v43
	v_dot2_f32_f16 v55, v1, v9, v55
	v_dot2_f32_f16 v56, v1, v10, v56
	v_dot2_f32_f16 v22, v1, v11, v22
	v_dot2_f32_f16 v57, v2, v8, v57
	v_dot2_f32_f16 v58, v2, v9, v58
	v_dot2_f32_f16 v59, v2, v10, v59
	v_dot2_f32_f16 v23, v2, v11, v23
	v_dot2_f32_f16 v62, v3, v8, v62
	v_dot2_f32_f16 v64, v3, v9, v64
	v_dot2_f32_f16 v67, v3, v10, v67
	v_dot2_f32_f16 v24, v3, v11, v24
	ds_read_b128 v[0:3], v14 offset:10240
	s_waitcnt lgkmcnt(1)
	v_dot2_f32_f16 v68, v16, v4, v68
	v_dot2_f32_f16 v73, v16, v5, v73
	;; [unrolled: 1-line block ×16, first 2 shown]
	ds_read_b128 v[4:7], v15 offset:26624
	v_dot2_f32_f16 v63, v16, v8, v63
	v_dot2_f32_f16 v71, v16, v9, v71
	;; [unrolled: 1-line block ×16, first 2 shown]
	ds_read_b128 v[8:11], v15 offset:26880
	ds_read_b128 v[16:19], v14 offset:10496
	s_waitcnt lgkmcnt(2)
	v_dot2_f32_f16 v12, v0, v4, v12
	v_dot2_f32_f16 v13, v0, v5, v13
	;; [unrolled: 1-line block ×16, first 2 shown]
	s_waitcnt lgkmcnt(1)
	v_dot2_f32_f16 v54, v0, v8, v54
	v_dot2_f32_f16 v37, v0, v9, v37
	;; [unrolled: 1-line block ×16, first 2 shown]
	ds_read_b128 v[0:3], v14 offset:10752
	s_waitcnt lgkmcnt(1)
	v_dot2_f32_f16 v68, v16, v4, v68
	v_dot2_f32_f16 v73, v16, v5, v73
	;; [unrolled: 1-line block ×16, first 2 shown]
	ds_read_b128 v[4:7], v15 offset:27136
	v_dot2_f32_f16 v63, v16, v8, v63
	v_dot2_f32_f16 v71, v16, v9, v71
	;; [unrolled: 1-line block ×16, first 2 shown]
	ds_read_b128 v[8:11], v15 offset:27392
	ds_read_b128 v[16:19], v14 offset:11008
	s_waitcnt lgkmcnt(2)
	v_dot2_f32_f16 v12, v0, v4, v12
	v_dot2_f32_f16 v13, v0, v5, v13
	;; [unrolled: 1-line block ×16, first 2 shown]
	s_waitcnt lgkmcnt(1)
	v_dot2_f32_f16 v54, v0, v8, v54
	v_dot2_f32_f16 v37, v0, v9, v37
	;; [unrolled: 1-line block ×16, first 2 shown]
	ds_read_b128 v[0:3], v14 offset:11264
	s_waitcnt lgkmcnt(1)
	v_dot2_f32_f16 v68, v16, v4, v68
	v_dot2_f32_f16 v73, v16, v5, v73
	;; [unrolled: 1-line block ×16, first 2 shown]
	ds_read_b128 v[4:7], v15 offset:27648
	v_dot2_f32_f16 v63, v16, v8, v63
	v_dot2_f32_f16 v71, v16, v9, v71
	;; [unrolled: 1-line block ×16, first 2 shown]
	ds_read_b128 v[8:11], v15 offset:27904
	ds_read_b128 v[16:19], v14 offset:11520
	s_waitcnt lgkmcnt(2)
	v_dot2_f32_f16 v12, v0, v4, v12
	v_dot2_f32_f16 v13, v0, v5, v13
	;; [unrolled: 1-line block ×16, first 2 shown]
	s_waitcnt lgkmcnt(1)
	v_dot2_f32_f16 v54, v0, v8, v54
	v_dot2_f32_f16 v37, v0, v9, v37
	;; [unrolled: 1-line block ×16, first 2 shown]
	ds_read_b128 v[0:3], v14 offset:11776
	s_waitcnt lgkmcnt(1)
	v_dot2_f32_f16 v68, v16, v4, v68
	v_dot2_f32_f16 v73, v16, v5, v73
	;; [unrolled: 1-line block ×16, first 2 shown]
	ds_read_b128 v[4:7], v15 offset:28160
	v_dot2_f32_f16 v63, v16, v8, v63
	v_dot2_f32_f16 v71, v16, v9, v71
	;; [unrolled: 1-line block ×16, first 2 shown]
	ds_read_b128 v[8:11], v15 offset:28416
	ds_read_b128 v[16:19], v14 offset:12032
	s_waitcnt lgkmcnt(2)
	v_dot2_f32_f16 v12, v0, v4, v12
	v_dot2_f32_f16 v13, v0, v5, v13
	v_dot2_f32_f16 v32, v0, v6, v32
	v_dot2_f32_f16 v36, v0, v7, v36
	v_dot2_f32_f16 v41, v1, v4, v41
	v_dot2_f32_f16 v42, v1, v5, v42
	v_dot2_f32_f16 v44, v1, v6, v44
	v_dot2_f32_f16 v45, v1, v7, v45
	v_dot2_f32_f16 v46, v2, v4, v46
	v_dot2_f32_f16 v47, v2, v5, v47
	v_dot2_f32_f16 v48, v2, v6, v48
	v_dot2_f32_f16 v49, v2, v7, v49
	v_dot2_f32_f16 v50, v3, v4, v50
	v_dot2_f32_f16 v51, v3, v5, v51
	v_dot2_f32_f16 v52, v3, v6, v52
	v_dot2_f32_f16 v53, v3, v7, v53
	s_waitcnt lgkmcnt(1)
	v_dot2_f32_f16 v54, v0, v8, v54
	v_dot2_f32_f16 v37, v0, v9, v37
	;; [unrolled: 1-line block ×16, first 2 shown]
	ds_read_b128 v[0:3], v14 offset:12288
	s_waitcnt lgkmcnt(1)
	v_dot2_f32_f16 v68, v16, v4, v68
	v_dot2_f32_f16 v73, v16, v5, v73
	;; [unrolled: 1-line block ×16, first 2 shown]
	ds_read_b128 v[4:7], v15 offset:28672
	v_dot2_f32_f16 v63, v16, v8, v63
	v_dot2_f32_f16 v71, v16, v9, v71
	;; [unrolled: 1-line block ×16, first 2 shown]
	ds_read_b128 v[8:11], v15 offset:28928
	ds_read_b128 v[16:19], v14 offset:12544
	s_waitcnt lgkmcnt(2)
	v_dot2_f32_f16 v12, v0, v4, v12
	v_dot2_f32_f16 v13, v0, v5, v13
	;; [unrolled: 1-line block ×16, first 2 shown]
	s_waitcnt lgkmcnt(1)
	v_dot2_f32_f16 v54, v0, v8, v54
	v_dot2_f32_f16 v37, v0, v9, v37
	;; [unrolled: 1-line block ×16, first 2 shown]
	ds_read_b128 v[0:3], v14 offset:12800
	s_waitcnt lgkmcnt(1)
	v_dot2_f32_f16 v68, v16, v4, v68
	v_dot2_f32_f16 v73, v16, v5, v73
	;; [unrolled: 1-line block ×16, first 2 shown]
	ds_read_b128 v[4:7], v15 offset:29184
	v_dot2_f32_f16 v63, v16, v8, v63
	v_dot2_f32_f16 v71, v16, v9, v71
	;; [unrolled: 1-line block ×16, first 2 shown]
	ds_read_b128 v[8:11], v15 offset:29440
	ds_read_b128 v[16:19], v14 offset:13056
	s_waitcnt lgkmcnt(2)
	v_dot2_f32_f16 v12, v0, v4, v12
	v_dot2_f32_f16 v13, v0, v5, v13
	;; [unrolled: 1-line block ×16, first 2 shown]
	s_waitcnt lgkmcnt(1)
	v_dot2_f32_f16 v54, v0, v8, v54
	v_dot2_f32_f16 v37, v0, v9, v37
	v_dot2_f32_f16 v38, v0, v10, v38
	v_dot2_f32_f16 v21, v0, v11, v21
	v_dot2_f32_f16 v43, v1, v8, v43
	v_dot2_f32_f16 v55, v1, v9, v55
	v_dot2_f32_f16 v56, v1, v10, v56
	v_dot2_f32_f16 v22, v1, v11, v22
	v_dot2_f32_f16 v57, v2, v8, v57
	v_dot2_f32_f16 v58, v2, v9, v58
	v_dot2_f32_f16 v59, v2, v10, v59
	v_dot2_f32_f16 v23, v2, v11, v23
	v_dot2_f32_f16 v62, v3, v8, v62
	v_dot2_f32_f16 v64, v3, v9, v64
	v_dot2_f32_f16 v67, v3, v10, v67
	v_dot2_f32_f16 v24, v3, v11, v24
	ds_read_b128 v[0:3], v14 offset:13312
	s_waitcnt lgkmcnt(1)
	v_dot2_f32_f16 v68, v16, v4, v68
	v_dot2_f32_f16 v73, v16, v5, v73
	;; [unrolled: 1-line block ×16, first 2 shown]
	ds_read_b128 v[4:7], v15 offset:29696
	v_dot2_f32_f16 v63, v16, v8, v63
	v_dot2_f32_f16 v71, v16, v9, v71
	;; [unrolled: 1-line block ×16, first 2 shown]
	ds_read_b128 v[8:11], v15 offset:29952
	ds_read_b128 v[16:19], v14 offset:13568
	s_waitcnt lgkmcnt(2)
	v_dot2_f32_f16 v12, v0, v4, v12
	v_dot2_f32_f16 v13, v0, v5, v13
	;; [unrolled: 1-line block ×16, first 2 shown]
	s_waitcnt lgkmcnt(1)
	v_dot2_f32_f16 v54, v0, v8, v54
	v_dot2_f32_f16 v37, v0, v9, v37
	;; [unrolled: 1-line block ×16, first 2 shown]
	ds_read_b128 v[0:3], v14 offset:13824
	s_waitcnt lgkmcnt(1)
	v_dot2_f32_f16 v68, v16, v4, v68
	v_dot2_f32_f16 v73, v16, v5, v73
	;; [unrolled: 1-line block ×16, first 2 shown]
	ds_read_b128 v[4:7], v15 offset:30208
	v_dot2_f32_f16 v63, v16, v8, v63
	v_dot2_f32_f16 v71, v16, v9, v71
	;; [unrolled: 1-line block ×16, first 2 shown]
	ds_read_b128 v[8:11], v15 offset:30464
	ds_read_b128 v[16:19], v14 offset:14080
	s_waitcnt lgkmcnt(2)
	v_dot2_f32_f16 v12, v0, v4, v12
	v_dot2_f32_f16 v13, v0, v5, v13
	;; [unrolled: 1-line block ×16, first 2 shown]
	s_waitcnt lgkmcnt(1)
	v_dot2_f32_f16 v54, v0, v8, v54
	v_dot2_f32_f16 v37, v0, v9, v37
	;; [unrolled: 1-line block ×16, first 2 shown]
	ds_read_b128 v[0:3], v14 offset:14336
	s_waitcnt lgkmcnt(1)
	v_dot2_f32_f16 v68, v16, v4, v68
	v_dot2_f32_f16 v73, v16, v5, v73
	;; [unrolled: 1-line block ×16, first 2 shown]
	ds_read_b128 v[4:7], v15 offset:30720
	v_dot2_f32_f16 v63, v16, v8, v63
	v_dot2_f32_f16 v71, v16, v9, v71
	;; [unrolled: 1-line block ×16, first 2 shown]
	ds_read_b128 v[8:11], v15 offset:30976
	ds_read_b128 v[16:19], v14 offset:14592
	s_waitcnt lgkmcnt(2)
	v_dot2_f32_f16 v12, v0, v4, v12
	v_dot2_f32_f16 v13, v0, v5, v13
	v_dot2_f32_f16 v32, v0, v6, v32
	v_dot2_f32_f16 v36, v0, v7, v36
	v_dot2_f32_f16 v41, v1, v4, v41
	v_dot2_f32_f16 v42, v1, v5, v42
	v_dot2_f32_f16 v44, v1, v6, v44
	v_dot2_f32_f16 v45, v1, v7, v45
	v_dot2_f32_f16 v46, v2, v4, v46
	v_dot2_f32_f16 v47, v2, v5, v47
	v_dot2_f32_f16 v48, v2, v6, v48
	v_dot2_f32_f16 v49, v2, v7, v49
	v_dot2_f32_f16 v50, v3, v4, v50
	v_dot2_f32_f16 v51, v3, v5, v51
	v_dot2_f32_f16 v52, v3, v6, v52
	v_dot2_f32_f16 v53, v3, v7, v53
	s_waitcnt lgkmcnt(1)
	v_dot2_f32_f16 v54, v0, v8, v54
	v_dot2_f32_f16 v37, v0, v9, v37
	;; [unrolled: 1-line block ×16, first 2 shown]
	ds_read_b128 v[0:3], v14 offset:14848
	s_waitcnt lgkmcnt(1)
	v_dot2_f32_f16 v68, v16, v4, v68
	v_dot2_f32_f16 v73, v16, v5, v73
	;; [unrolled: 1-line block ×16, first 2 shown]
	ds_read_b128 v[4:7], v15 offset:31232
	v_dot2_f32_f16 v63, v16, v8, v63
	v_dot2_f32_f16 v71, v16, v9, v71
	;; [unrolled: 1-line block ×16, first 2 shown]
	ds_read_b128 v[8:11], v15 offset:31488
	ds_read_b128 v[16:19], v14 offset:15104
	s_waitcnt lgkmcnt(2)
	v_dot2_f32_f16 v12, v0, v4, v12
	v_dot2_f32_f16 v13, v0, v5, v13
	;; [unrolled: 1-line block ×16, first 2 shown]
	s_waitcnt lgkmcnt(1)
	v_dot2_f32_f16 v54, v0, v8, v54
	v_dot2_f32_f16 v37, v0, v9, v37
	;; [unrolled: 1-line block ×16, first 2 shown]
	ds_read_b128 v[0:3], v14 offset:15360
	s_waitcnt lgkmcnt(1)
	v_dot2_f32_f16 v68, v16, v4, v68
	v_dot2_f32_f16 v73, v16, v5, v73
	;; [unrolled: 1-line block ×16, first 2 shown]
	ds_read_b128 v[4:7], v15 offset:31744
	v_dot2_f32_f16 v63, v16, v8, v63
	v_dot2_f32_f16 v71, v16, v9, v71
	;; [unrolled: 1-line block ×16, first 2 shown]
	ds_read_b128 v[8:11], v15 offset:32000
	ds_read_b128 v[16:19], v14 offset:15616
	s_waitcnt lgkmcnt(2)
	v_dot2_f32_f16 v12, v0, v4, v12
	v_dot2_f32_f16 v13, v0, v5, v13
	v_dot2_f32_f16 v32, v0, v6, v32
	v_dot2_f32_f16 v36, v0, v7, v36
	v_dot2_f32_f16 v82, v1, v4, v41
	v_dot2_f32_f16 v42, v1, v5, v42
	v_dot2_f32_f16 v83, v1, v6, v44
	v_dot2_f32_f16 v84, v1, v7, v45
	v_dot2_f32_f16 v85, v2, v4, v46
	v_dot2_f32_f16 v86, v2, v5, v47
	v_dot2_f32_f16 v48, v2, v6, v48
	v_dot2_f32_f16 v49, v2, v7, v49
	v_dot2_f32_f16 v50, v3, v4, v50
	v_dot2_f32_f16 v51, v3, v5, v51
	v_dot2_f32_f16 v87, v3, v6, v52
	v_dot2_f32_f16 v88, v3, v7, v53
	s_waitcnt lgkmcnt(1)
	v_dot2_f32_f16 v89, v0, v8, v54
	v_dot2_f32_f16 v37, v0, v9, v37
	v_dot2_f32_f16 v38, v0, v10, v38
	v_dot2_f32_f16 v90, v0, v11, v21
	v_dot2_f32_f16 v43, v1, v8, v43
	v_dot2_f32_f16 v91, v1, v9, v55
	v_dot2_f32_f16 v56, v1, v10, v56
	v_dot2_f32_f16 v22, v1, v11, v22
	v_dot2_f32_f16 v57, v2, v8, v57
	v_dot2_f32_f16 v58, v2, v9, v58
	v_dot2_f32_f16 v59, v2, v10, v59
	v_dot2_f32_f16 v23, v2, v11, v23
	v_dot2_f32_f16 v92, v3, v8, v62
	v_dot2_f32_f16 v93, v3, v9, v64
	v_dot2_f32_f16 v67, v3, v10, v67
	v_dot2_f32_f16 v94, v3, v11, v24
	ds_read_b128 v[0:3], v14 offset:15872
	ds_read_b128 v[44:47], v15 offset:32256
	s_waitcnt lgkmcnt(2)
	v_dot2_f32_f16 v68, v16, v4, v68
	v_dot2_f32_f16 v79, v17, v4, v79
	;; [unrolled: 1-line block ×6, first 2 shown]
	ds_read_b128 v[52:55], v15 offset:32512
	ds_read_b128 v[61:64], v14 offset:16128
	buffer_load_dword v4, off, s[60:63], 0 offset:152 ; 4-byte Folded Reload
	v_dot2_f32_f16 v73, v16, v5, v73
	v_dot2_f32_f16 v95, v17, v5, v78
	;; [unrolled: 1-line block ×4, first 2 shown]
	buffer_load_dword v5, off, s[60:63], 0 offset:148 ; 4-byte Folded Reload
	v_dot2_f32_f16 v112, v19, v11, v31
	v_dot2_f32_f16 v104, v17, v11, v34
	;; [unrolled: 1-line block ×3, first 2 shown]
	s_waitcnt lgkmcnt(2)
	v_dot2_f32_f16 v113, v0, v44, v12
	v_dot2_f32_f16 v102, v16, v11, v33
	s_waitcnt lgkmcnt(1)
	v_dot2_f32_f16 v33, v1, v55, v22
	v_dot2_f32_f16 v22, v2, v54, v59
	;; [unrolled: 1-line block ×10, first 2 shown]
	s_lshl_b32 s6, s39, 6
	v_dot2_f32_f16 v26, v3, v45, v51
	v_dot2_f32_f16 v120, v1, v52, v43
	s_waitcnt lgkmcnt(0)
	v_dot2_f32_f16 v30, v61, v45, v73
	v_dot2_f32_f16 v43, v62, v45, v95
	;; [unrolled: 1-line block ×56, first 2 shown]
	s_waitcnt vmcnt(1)
	v_lshl_or_b32 v31, s42, 7, v4
	v_mul_lo_u32 v4, v31, s38
	v_cmp_gt_i32_e64 s[2:3], s17, v31
	v_dot2_f32_f16 v17, v3, v55, v94
	v_dot2_f32_f16 v3, v61, v55, v102
	s_waitcnt vmcnt(0)
	v_lshl_add_u32 v34, s43, 7, v5
	v_mad_u64_u32 v[4:5], s[0:1], v34, s39, v[4:5]
	v_cmp_gt_i32_e32 vcc, s19, v34
	s_and_b64 s[0:1], s[2:3], vcc
	v_lshlrev_b32_e32 v5, 1, v4
	buffer_load_dwordx2 v[20:21], v5, s[24:27], 0 offen
	v_add_u32_e32 v12, s38, v4
	v_add_u32_e32 v59, s38, v12
	;; [unrolled: 1-line block ×3, first 2 shown]
	v_lshlrev_b32_e32 v0, 1, v12
	v_lshlrev_b32_e32 v2, 1, v59
	v_add_lshl_u32 v53, v45, s6, 1
	buffer_load_dwordx2 v[70:71], v0, s[24:27], 0 offen
	buffer_load_dwordx2 v[82:83], v2, s[24:27], 0 offen
	buffer_load_dwordx2 v[88:89], v53, s[24:27], 0 offen
	v_add_lshl_u32 v0, v12, s6, 1
	v_add_lshl_u32 v12, v59, s6, 1
	buffer_load_dwordx2 v[84:85], v12, s[24:27], 0 offen
	buffer_load_dwordx2 v[77:78], v0, s[24:27], 0 offen
	v_add_lshl_u32 v5, v4, s6, 1
	buffer_load_dwordx2 v[48:49], v5, s[24:27], 0 offen
	v_dot2_f32_f16 v5, v62, v47, v76
	v_lshlrev_b32_e32 v47, 1, v45
	buffer_load_dwordx2 v[86:87], v47, s[24:27], 0 offen
	v_dot2_f32_f16 v0, v61, v46, v81
	v_dot2_f32_f16 v4, v62, v46, v96
	;; [unrolled: 1-line block ×6, first 2 shown]
	v_or_b32_e32 v59, 1, v31
	v_dot2_f32_f16 v7, v62, v55, v104
	v_dot2_f32_f16 v6, v62, v54, v65
	s_lshl_b32 s18, s36, 1
	s_waitcnt vmcnt(7)
	v_cndmask_b32_e64 v73, 0, v21, s[0:1]
	v_cndmask_b32_e64 v21, 0, v20, s[0:1]
	v_cvt_f32_f16_e32 v47, v21
	v_cvt_f32_f16_sdwa v52, v21 dst_sel:DWORD dst_unused:UNUSED_PAD src0_sel:WORD_1
	v_dot2_f32_f16 v21, v64, v55, v112
	v_dot2_f32_f16 v20, v64, v54, v111
	v_add_f32_e32 v47, v113, v47
	v_max_f32_e32 v75, 0, v47
	v_add_f32_e32 v47, v114, v52
	v_add_u32_e32 v52, 64, v34
	v_cmp_gt_i32_e64 s[0:1], s19, v52
	s_and_b64 s[2:3], s[2:3], s[0:1]
	v_max_f32_e32 v80, 0, v47
	s_mov_b32 s19, s27
	s_waitcnt vmcnt(1)
	v_cndmask_b32_e64 v63, 0, v49, s[2:3]
	v_cndmask_b32_e64 v49, 0, v48, s[2:3]
	v_cvt_f32_f16_e32 v53, v49
	v_mad_u64_u32 v[47:48], s[2:3], s38, 61, v[45:46]
	v_cmp_gt_i32_e64 s[2:3], s17, v59
	v_add_f32_e32 v45, v118, v53
	v_cvt_f32_f16_sdwa v53, v49 dst_sel:DWORD dst_unused:UNUSED_PAD src0_sel:WORD_1
	v_max_f32_e32 v74, 0, v45
	v_lshlrev_b32_e32 v45, 1, v47
	buffer_load_dwordx2 v[48:49], v45, s[24:27], 0 offen
	s_and_b64 s[4:5], s[2:3], vcc
	v_add_lshl_u32 v61, v47, s6, 1
	buffer_load_dwordx2 v[90:91], v61, s[24:27], 0 offen
	v_add_f32_e32 v45, v119, v53
	v_cndmask_b32_e64 v53, 0, v70, s[4:5]
	v_cvt_f32_f16_e32 v55, v53
	v_max_f32_e32 v81, 0, v45
	s_and_b64 s[2:3], s[2:3], s[0:1]
	v_add_u32_e32 v47, s38, v47
	v_add_f32_e32 v45, v115, v55
	v_max_f32_e32 v62, 0, v45
	v_cvt_f32_f16_sdwa v45, v53 dst_sel:DWORD dst_unused:UNUSED_PAD src0_sel:WORD_1
	v_cndmask_b32_e64 v53, 0, v77, s[2:3]
	v_cvt_f32_f16_e32 v55, v53
	v_lshlrev_b32_e32 v61, 1, v47
	buffer_load_dwordx2 v[92:93], v61, s[24:27], 0 offen
	v_add_f32_e32 v45, v116, v45
	v_max_f32_e32 v72, 0, v45
	v_add_f32_e32 v45, v120, v55
	v_cvt_f32_f16_sdwa v53, v53 dst_sel:DWORD dst_unused:UNUSED_PAD src0_sel:WORD_1
	v_or_b32_e32 v55, 2, v31
	v_cndmask_b32_e64 v76, 0, v78, s[2:3]
	v_cmp_gt_i32_e64 s[2:3], s17, v55
	v_add_lshl_u32 v61, v47, s6, 1
	v_cndmask_b32_e64 v54, 0, v71, s[4:5]
	buffer_load_dwordx2 v[94:95], v61, s[24:27], 0 offen
	s_and_b64 s[4:5], s[2:3], vcc
	v_cndmask_b32_e64 v61, 0, v82, s[4:5]
	v_max_f32_e32 v99, 0, v45
	v_add_f32_e32 v45, v121, v53
	v_cvt_f32_f16_sdwa v53, v61 dst_sel:DWORD dst_unused:UNUSED_PAD src0_sel:WORD_1
	v_cvt_f32_f16_e32 v64, v61
	v_add_u32_e32 v47, s38, v47
	v_max_f32_e32 v100, 0, v45
	v_add_f32_e32 v36, v36, v53
	v_add_f32_e32 v45, v117, v64
	v_lshlrev_b32_e32 v61, 1, v47
	s_and_b64 s[2:3], s[2:3], s[0:1]
	v_max_f32_e32 v79, 0, v36
	v_add_lshl_u32 v36, v47, s6, 1
	v_cndmask_b32_e64 v67, 0, v83, s[4:5]
	buffer_load_dwordx2 v[96:97], v61, s[24:27], 0 offen
	v_max_f32_e32 v78, 0, v45
	v_cndmask_b32_e64 v45, 0, v84, s[2:3]
	buffer_load_dwordx2 v[83:84], v36, s[24:27], 0 offen
	v_cvt_f32_f16_e32 v53, v45
	v_cndmask_b32_e64 v65, 0, v85, s[2:3]
	v_add_u32_e32 v47, s38, v47
	v_lshlrev_b32_e32 v70, 1, v47
	v_add_f32_e32 v36, v57, v53
	v_or_b32_e32 v57, 3, v31
	v_cmp_gt_i32_e64 s[2:3], s17, v57
	s_and_b64 s[4:5], s[2:3], vcc
	s_waitcnt vmcnt(6)
	v_cndmask_b32_e64 v61, 0, v86, s[4:5]
	buffer_load_dwordx2 v[85:86], v70, s[24:27], 0 offen
	v_cvt_f32_f16_sdwa v45, v45 dst_sel:DWORD dst_unused:UNUSED_PAD src0_sel:WORD_1
	s_and_b64 s[2:3], s[2:3], s[0:1]
	v_add_lshl_u32 v47, v47, s6, 1
	v_cndmask_b32_e64 v53, 0, v87, s[4:5]
	v_max_f32_e32 v82, 0, v36
	v_add_f32_e32 v36, v122, v45
	v_cndmask_b32_e64 v45, 0, v88, s[2:3]
	buffer_load_dwordx2 v[87:88], v47, s[24:27], 0 offen
	v_max_f32_e32 v101, 0, v36
	v_cvt_f32_f16_sdwa v36, v61 dst_sel:DWORD dst_unused:UNUSED_PAD src0_sel:WORD_1
	v_cvt_f32_f16_e32 v47, v45
	v_cndmask_b32_e64 v77, 0, v89, s[2:3]
	v_cvt_f32_f16_e32 v64, v61
	v_add_f32_e32 v26, v26, v36
	v_max_f32_e32 v71, 0, v26
	v_or_b32_e32 v26, 64, v31
	v_cmp_gt_i32_e64 s[2:3], s17, v26
	s_and_b64 s[4:5], s[2:3], vcc
	v_cvt_f32_f16_sdwa v36, v45 dst_sel:DWORD dst_unused:UNUSED_PAD src0_sel:WORD_1
	v_add_f32_e32 v35, v35, v47
	s_and_b64 s[2:3], s[2:3], s[0:1]
	v_add_f32_e32 v27, v27, v64
	v_add_f32_e32 v28, v28, v36
	v_max_f32_e32 v102, 0, v28
	s_waitcnt vmcnt(7)
	v_cndmask_b32_e64 v45, 0, v48, s[4:5]
	v_cvt_f32_f16_e32 v47, v45
	v_max_f32_e32 v89, 0, v35
	s_waitcnt vmcnt(6)
	v_cndmask_b32_e64 v35, 0, v91, s[2:3]
	v_cndmask_b32_e64 v36, 0, v90, s[2:3]
	v_add_f32_e32 v28, v29, v47
	v_cvt_f32_f16_sdwa v29, v45 dst_sel:DWORD dst_unused:UNUSED_PAD src0_sel:WORD_1
	v_max_f32_e32 v70, 0, v27
	v_cndmask_b32_e64 v27, 0, v49, s[4:5]
	v_cvt_f32_f16_e32 v45, v36
	v_add_f32_e32 v29, v30, v29
	v_add_u32_e32 v30, 0x41, v31
	v_cmp_gt_i32_e64 s[2:3], s17, v30
	s_and_b64 s[4:5], s[2:3], vcc
	v_cvt_f32_f16_sdwa v48, v36 dst_sel:DWORD dst_unused:UNUSED_PAD src0_sel:WORD_1
	s_and_b64 s[2:3], s[2:3], s[0:1]
	s_waitcnt vmcnt(5)
	v_cndmask_b32_e64 v49, 0, v92, s[4:5]
	v_cvt_f32_f16_e32 v61, v49
	v_add_f32_e32 v47, v98, v45
	v_add_f32_e32 v37, v37, v48
	v_cvt_f32_f16_sdwa v48, v49 dst_sel:DWORD dst_unused:UNUSED_PAD src0_sel:WORD_1
	v_max_f32_e32 v36, 0, v47
	v_add_f32_e32 v47, v42, v61
	v_cndmask_b32_e64 v45, 0, v93, s[4:5]
	v_add_f32_e32 v43, v43, v48
	v_max_f32_e32 v48, 0, v43
	s_waitcnt vmcnt(4)
	v_cndmask_b32_e64 v49, 0, v94, s[2:3]
	v_cvt_f32_f16_e32 v61, v49
	v_cndmask_b32_e64 v42, 0, v95, s[2:3]
	v_max_f32_e32 v47, 0, v47
	v_max_f32_e32 v37, 0, v37
	v_add_f32_e32 v43, v46, v61
	v_cvt_f32_f16_sdwa v61, v49 dst_sel:DWORD dst_unused:UNUSED_PAD src0_sel:WORD_1
	v_add_u32_e32 v46, 0x42, v31
	v_cmp_gt_i32_e64 s[2:3], s17, v46
	s_and_b64 s[4:5], s[2:3], vcc
	s_and_b64 s[2:3], s[2:3], s[0:1]
	v_add_f32_e32 v44, v44, v61
	v_max_f32_e32 v43, 0, v43
	v_max_f32_e32 v44, 0, v44
	;; [unrolled: 1-line block ×4, first 2 shown]
	s_waitcnt vmcnt(3)
	v_cndmask_b32_e64 v64, 0, v96, s[4:5]
	v_cvt_f32_f16_e32 v90, v64
	v_cvt_f32_f16_sdwa v64, v64 dst_sel:DWORD dst_unused:UNUSED_PAD src0_sel:WORD_1
	s_waitcnt vmcnt(2)
	v_cndmask_b32_e64 v83, 0, v83, s[2:3]
	v_cndmask_b32_e64 v61, 0, v84, s[2:3]
	v_cvt_f32_f16_e32 v84, v83
	v_add_f32_e32 v51, v51, v64
	v_cvt_f32_f16_sdwa v83, v83 dst_sel:DWORD dst_unused:UNUSED_PAD src0_sel:WORD_1
	v_cndmask_b32_e64 v49, 0, v97, s[4:5]
	v_add_f32_e32 v64, v58, v84
	v_add_u32_e32 v58, 0x43, v31
	v_cmp_gt_i32_e64 s[2:3], s17, v58
	s_and_b64 vcc, s[2:3], vcc
	s_waitcnt vmcnt(1)
	v_cndmask_b32_e32 v85, 0, v85, vcc
	v_cndmask_b32_e32 v84, 0, v86, vcc
	v_cvt_f32_f16_e32 v86, v85
	v_cvt_f32_f16_sdwa v85, v85 dst_sel:DWORD dst_unused:UNUSED_PAD src0_sel:WORD_1
	s_and_b64 vcc, s[2:3], s[0:1]
	v_add_f32_e32 v66, v66, v83
	v_add_f32_e32 v56, v56, v86
	;; [unrolled: 1-line block ×3, first 2 shown]
	s_waitcnt vmcnt(0)
	v_cndmask_b32_e32 v86, 0, v87, vcc
	v_cvt_f32_f16_e32 v87, v86
	v_cvt_f32_f16_sdwa v85, v86 dst_sel:DWORD dst_unused:UNUSED_PAD src0_sel:WORD_1
	v_max_f32_e32 v86, 0, v60
	v_max_f32_e32 v83, 0, v56
	v_add_f32_e32 v60, v69, v87
	v_max_f32_e32 v87, 0, v60
	v_add_f32_e32 v60, v68, v85
	v_cvt_f32_f16_sdwa v68, v73 dst_sel:DWORD dst_unused:UNUSED_PAD src0_sel:WORD_1
	v_cvt_f32_f16_e32 v69, v73
	v_max_f32_e32 v85, 0, v60
	v_mul_lo_u32 v60, v31, s34
	v_add_f32_e32 v41, v41, v68
	v_add_f32_e32 v40, v40, v69
	v_max_f32_e32 v40, 0, v40
	v_max_f32_e32 v41, 0, v41
	v_cvt_f16_f32_e32 v73, v75
	v_cvt_f16_f32_e32 v75, v80
	;; [unrolled: 1-line block ×4, first 2 shown]
	v_mad_u64_u32 v[40:41], s[0:1], v34, s35, v[60:61]
	v_cndmask_b32_e32 v56, 0, v88, vcc
	v_cmp_gt_i32_e32 vcc, s33, v34
	v_cmp_gt_i32_e64 s[2:3], s15, v31
	v_bfrev_b32_e32 v31, 1
	s_and_b64 s[0:1], s[2:3], vcc
	v_cndmask_b32_e64 v34, v31, 0, s[0:1]
	v_pack_b32_f16 v68, v73, v75
	v_pack_b32_f16 v69, v80, v69
	s_and_b32 s17, s46, 0xffff
	v_lshl_add_u32 v34, v40, 1, v34
	buffer_store_dwordx2 v[68:69], v34, s[16:19], 0 offen
	v_cvt_f32_f16_sdwa v34, v63 dst_sel:DWORD dst_unused:UNUSED_PAD src0_sel:WORD_1
	v_cvt_f32_f16_e32 v41, v63
	v_cvt_f16_f32_e32 v60, v74
	v_cvt_f16_f32_e32 v63, v81
	v_add_f32_e32 v34, v39, v34
	v_add_f32_e32 v38, v38, v41
	v_max_f32_e32 v38, 0, v38
	v_max_f32_e32 v34, 0, v34
	v_cvt_f16_f32_e32 v34, v34
	v_cvt_f16_f32_e32 v39, v38
	v_pack_b32_f16 v38, v60, v63
	v_cmp_gt_i32_e64 s[0:1], s33, v52
	v_cvt_f32_f16_sdwa v52, v76 dst_sel:DWORD dst_unused:UNUSED_PAD src0_sel:WORD_1
	v_cvt_f32_f16_e32 v60, v76
	s_lshl_b32 s4, s35, 6
	s_and_b64 s[2:3], s[2:3], s[0:1]
	v_add_u32_e32 v41, s4, v40
	v_pack_b32_f16 v39, v39, v34
	v_cndmask_b32_e64 v34, v31, 0, s[2:3]
	v_lshl_add_u32 v34, v41, 1, v34
	v_add_f32_e32 v33, v33, v52
	v_add_f32_e32 v32, v32, v60
	buffer_store_dwordx2 v[38:39], v34, s[16:19], 0 offen
	v_add_u32_e32 v34, s34, v41
	v_cvt_f32_f16_sdwa v39, v54 dst_sel:DWORD dst_unused:UNUSED_PAD src0_sel:WORD_1
	v_cvt_f32_f16_e32 v41, v54
	v_max_f32_e32 v32, 0, v32
	v_max_f32_e32 v33, 0, v33
	v_cvt_f16_f32_e32 v33, v33
	v_cvt_f16_f32_e32 v52, v32
	;; [unrolled: 1-line block ×4, first 2 shown]
	v_add_f32_e32 v25, v25, v39
	v_add_f32_e32 v24, v24, v41
	v_cmp_gt_i32_e64 s[2:3], s15, v59
	v_max_f32_e32 v24, 0, v24
	v_max_f32_e32 v25, 0, v25
	v_pack_b32_f16 v33, v52, v33
	s_and_b64 s[6:7], s[2:3], s[0:1]
	v_cvt_f16_f32_e32 v52, v62
	v_cvt_f16_f32_e32 v54, v72
	v_cvt_f16_f32_e32 v25, v25
	v_cvt_f16_f32_e32 v39, v24
	v_cndmask_b32_e64 v38, v31, 0, s[6:7]
	v_pack_b32_f16 v32, v63, v68
	v_lshl_add_u32 v38, v34, 1, v38
	s_and_b64 s[2:3], s[2:3], vcc
	buffer_store_dwordx2 v[32:33], v38, s[16:19], 0 offen
	v_add_u32_e32 v32, s34, v40
	v_cndmask_b32_e64 v33, v31, 0, s[2:3]
	v_cmp_gt_i32_e64 s[2:3], s15, v55
	v_pack_b32_f16 v24, v52, v54
	v_pack_b32_f16 v25, v39, v25
	v_lshl_add_u32 v33, v32, 1, v33
	s_and_b64 s[6:7], s[2:3], vcc
	v_cvt_f32_f16_sdwa v38, v67 dst_sel:DWORD dst_unused:UNUSED_PAD src0_sel:WORD_1
	v_cvt_f32_f16_e32 v39, v67
	buffer_store_dwordx2 v[24:25], v33, s[16:19], 0 offen
	v_add_u32_e32 v24, s34, v32
	v_cndmask_b32_e64 v25, v31, 0, s[6:7]
	v_lshl_add_u32 v24, v24, 1, v25
	v_cvt_f32_f16_sdwa v25, v65 dst_sel:DWORD dst_unused:UNUSED_PAD src0_sel:WORD_1
	v_cvt_f32_f16_e32 v32, v65
	v_add_f32_e32 v19, v19, v38
	v_add_f32_e32 v18, v18, v39
	v_max_f32_e32 v18, 0, v18
	v_max_f32_e32 v19, 0, v19
	v_add_f32_e32 v23, v23, v25
	v_add_f32_e32 v22, v22, v32
	v_cvt_f16_f32_e32 v40, v78
	v_cvt_f16_f32_e32 v41, v79
	;; [unrolled: 1-line block ×4, first 2 shown]
	v_max_f32_e32 v22, 0, v22
	v_max_f32_e32 v23, 0, v23
	v_cvt_f16_f32_e32 v23, v23
	v_cvt_f16_f32_e32 v22, v22
	v_pack_b32_f16 v18, v40, v41
	v_pack_b32_f16 v19, v38, v19
	buffer_store_dwordx2 v[18:19], v24, s[16:19], 0 offen
	v_pack_b32_f16 v19, v22, v23
	v_cvt_f32_f16_sdwa v23, v77 dst_sel:DWORD dst_unused:UNUSED_PAD src0_sel:WORD_1
	v_cvt_f32_f16_e32 v25, v77
	v_cvt_f16_f32_e32 v33, v82
	v_cvt_f16_f32_e32 v38, v101
	v_add_f32_e32 v17, v17, v23
	v_add_f32_e32 v16, v16, v25
	v_max_f32_e32 v16, 0, v16
	v_max_f32_e32 v17, 0, v17
	v_cvt_f16_f32_e32 v17, v17
	v_cvt_f16_f32_e32 v23, v16
	s_and_b64 s[2:3], s[2:3], s[0:1]
	v_add_u32_e32 v24, s34, v34
	v_cndmask_b32_e64 v22, v31, 0, s[2:3]
	v_pack_b32_f16 v18, v33, v38
	v_lshl_add_u32 v22, v24, 1, v22
	buffer_store_dwordx2 v[18:19], v22, s[16:19], 0 offen
	v_pack_b32_f16 v17, v23, v17
	v_cvt_f32_f16_sdwa v22, v53 dst_sel:DWORD dst_unused:UNUSED_PAD src0_sel:WORD_1
	v_cvt_f32_f16_e32 v23, v53
	v_cvt_f16_f32_e32 v32, v89
	v_cvt_f16_f32_e32 v33, v102
	v_add_f32_e32 v11, v11, v22
	v_add_f32_e32 v10, v10, v23
	v_cmp_gt_i32_e64 s[2:3], s15, v57
	v_max_f32_e32 v10, 0, v10
	v_max_f32_e32 v11, 0, v11
	v_pack_b32_f16 v16, v32, v33
	s_and_b64 s[6:7], s[2:3], s[0:1]
	v_cvt_f16_f32_e32 v25, v70
	v_cvt_f16_f32_e32 v32, v71
	v_cvt_f16_f32_e32 v11, v11
	v_cvt_f16_f32_e32 v22, v10
	v_add_u32_e32 v18, s34, v24
	v_cndmask_b32_e64 v19, v31, 0, s[6:7]
	v_lshl_add_u32 v19, v18, 1, v19
	s_and_b64 s[2:3], s[2:3], vcc
	buffer_store_dwordx2 v[16:17], v19, s[16:19], 0 offen
	v_subrev_u32_e32 v16, s4, v18
	v_cndmask_b32_e64 v17, v31, 0, s[2:3]
	v_pack_b32_f16 v10, v25, v32
	v_pack_b32_f16 v11, v22, v11
	v_lshl_add_u32 v17, v16, 1, v17
	buffer_store_dwordx2 v[10:11], v17, s[16:19], 0 offen
	v_cvt_f32_f16_sdwa v10, v84 dst_sel:DWORD dst_unused:UNUSED_PAD src0_sel:WORD_1
	v_cvt_f32_f16_e32 v11, v84
	v_cmp_gt_i32_e64 s[2:3], s15, v58
	s_lshl_b32 s5, s34, 6
	v_add_f32_e32 v10, v15, v10
	v_add_f32_e32 v11, v14, v11
	v_max_f32_e32 v11, 0, v11
	v_max_f32_e32 v10, 0, v10
	v_cvt_f16_f32_e32 v14, v10
	v_cvt_f16_f32_e32 v11, v11
	s_and_b64 s[6:7], s[2:3], vcc
	v_add_u32_e32 v15, s5, v16
	v_cvt_f32_f16_e32 v16, v56
	v_pack_b32_f16 v11, v11, v14
	v_cndmask_b32_e64 v14, v31, 0, s[6:7]
	v_lshl_add_u32 v14, v15, 1, v14
	v_cvt_f32_f16_sdwa v15, v56 dst_sel:DWORD dst_unused:UNUSED_PAD src0_sel:WORD_1
	v_add_f32_e32 v16, v20, v16
	v_cvt_f16_f32_e32 v17, v83
	v_cvt_f16_f32_e32 v19, v86
	v_add_f32_e32 v15, v21, v15
	v_max_f32_e32 v16, 0, v16
	v_max_f32_e32 v15, 0, v15
	v_cvt_f16_f32_e32 v15, v15
	v_cvt_f16_f32_e32 v16, v16
	v_pack_b32_f16 v10, v17, v19
	s_and_b64 s[2:3], s[2:3], s[0:1]
	buffer_store_dwordx2 v[10:11], v14, s[16:19], 0 offen
	v_add_u32_e32 v14, s5, v18
	v_pack_b32_f16 v11, v16, v15
	v_cndmask_b32_e64 v15, v31, 0, s[2:3]
	v_lshl_add_u32 v14, v14, 1, v15
	v_cvt_f32_f16_sdwa v15, v61 dst_sel:DWORD dst_unused:UNUSED_PAD src0_sel:WORD_1
	v_cvt_f32_f16_e32 v16, v61
	v_cvt_f16_f32_e32 v17, v87
	v_cvt_f16_f32_e32 v19, v85
	v_add_f32_e32 v13, v13, v15
	v_add_f32_e32 v12, v12, v16
	v_max_f32_e32 v12, 0, v12
	v_max_f32_e32 v13, 0, v13
	v_cvt_f16_f32_e32 v13, v13
	v_cvt_f16_f32_e32 v12, v12
	v_pack_b32_f16 v10, v17, v19
	buffer_store_dwordx2 v[10:11], v14, s[16:19], 0 offen
	v_cvt_f32_f16_e32 v15, v49
	v_pack_b32_f16 v11, v12, v13
	v_cvt_f32_f16_sdwa v13, v49 dst_sel:DWORD dst_unused:UNUSED_PAD src0_sel:WORD_1
	v_max_f32_e32 v64, 0, v64
	v_max_f32_e32 v66, 0, v66
	v_cvt_f16_f32_e32 v17, v64
	v_cvt_f16_f32_e32 v18, v66
	v_add_f32_e32 v50, v50, v90
	v_add_f32_e32 v9, v9, v13
	;; [unrolled: 1-line block ×3, first 2 shown]
	v_max_f32_e32 v50, 0, v50
	v_max_f32_e32 v51, 0, v51
	v_cmp_ge_i32_e64 s[2:3], s15, v58
	v_max_f32_e32 v8, 0, v8
	v_max_f32_e32 v9, 0, v9
	v_pack_b32_f16 v10, v17, v18
	s_and_b64 s[2:3], s[2:3], s[0:1]
	v_cvt_f16_f32_e32 v16, v50
	v_cvt_f16_f32_e32 v17, v51
	;; [unrolled: 1-line block ×4, first 2 shown]
	v_add_u32_e32 v14, s5, v24
	v_cndmask_b32_e64 v12, v31, 0, s[2:3]
	v_cmp_gt_i32_e64 s[2:3], s15, v46
	v_lshl_add_u32 v12, v14, 1, v12
	s_and_b64 s[2:3], s[2:3], vcc
	buffer_store_dwordx2 v[10:11], v12, s[16:19], 0 offen
	v_subrev_u32_e32 v10, s4, v14
	v_cndmask_b32_e64 v11, v31, 0, s[2:3]
	v_pack_b32_f16 v8, v16, v17
	v_pack_b32_f16 v9, v13, v9
	v_lshl_add_u32 v11, v10, 1, v11
	v_cvt_f32_f16_sdwa v12, v45 dst_sel:DWORD dst_unused:UNUSED_PAD src0_sel:WORD_1
	v_cvt_f32_f16_e32 v13, v45
	buffer_store_dwordx2 v[8:9], v11, s[16:19], 0 offen
	v_subrev_u32_e32 v8, s34, v10
	v_cvt_f32_f16_sdwa v10, v42 dst_sel:DWORD dst_unused:UNUSED_PAD src0_sel:WORD_1
	v_cvt_f32_f16_e32 v11, v42
	v_add_f32_e32 v5, v5, v12
	v_add_f32_e32 v4, v4, v13
	v_max_f32_e32 v4, 0, v4
	v_max_f32_e32 v5, 0, v5
	v_add_f32_e32 v7, v7, v10
	v_add_f32_e32 v6, v6, v11
	v_cvt_f16_f32_e32 v14, v47
	v_cvt_f16_f32_e32 v15, v48
	;; [unrolled: 1-line block ×4, first 2 shown]
	v_max_f32_e32 v6, 0, v6
	v_max_f32_e32 v7, 0, v7
	v_cmp_ge_i32_e64 s[2:3], s15, v46
	v_cvt_f16_f32_e32 v7, v7
	v_cvt_f16_f32_e32 v6, v6
	s_and_b64 s[2:3], s[2:3], vcc
	v_cndmask_b32_e64 v9, v31, 0, s[2:3]
	v_pack_b32_f16 v4, v14, v15
	v_pack_b32_f16 v5, v12, v5
	v_lshl_add_u32 v9, v8, 1, v9
	buffer_store_dwordx2 v[4:5], v9, s[16:19], 0 offen
	v_pack_b32_f16 v5, v6, v7
	v_cvt_f32_f16_sdwa v7, v35 dst_sel:DWORD dst_unused:UNUSED_PAD src0_sel:WORD_1
	v_cvt_f32_f16_e32 v9, v35
	v_cvt_f16_f32_e32 v12, v43
	v_cvt_f16_f32_e32 v13, v44
	v_add_f32_e32 v3, v3, v7
	v_add_f32_e32 v2, v2, v9
	v_max_f32_e32 v2, 0, v2
	v_max_f32_e32 v3, 0, v3
	v_cmp_gt_i32_e64 s[2:3], s15, v30
	v_cvt_f16_f32_e32 v3, v3
	v_cvt_f16_f32_e32 v7, v2
	s_and_b64 s[2:3], s[2:3], s[0:1]
	v_add_u32_e32 v8, s4, v8
	v_cndmask_b32_e64 v6, v31, 0, s[2:3]
	v_pack_b32_f16 v4, v12, v13
	v_lshl_add_u32 v6, v8, 1, v6
	buffer_store_dwordx2 v[4:5], v6, s[16:19], 0 offen
	v_pack_b32_f16 v3, v7, v3
	v_cvt_f32_f16_sdwa v6, v27 dst_sel:DWORD dst_unused:UNUSED_PAD src0_sel:WORD_1
	v_cvt_f32_f16_e32 v7, v27
	v_cvt_f16_f32_e32 v10, v36
	v_cvt_f16_f32_e32 v11, v37
	v_add_f32_e32 v1, v1, v6
	v_add_f32_e32 v0, v0, v7
	v_cmp_ge_i32_e64 s[2:3], s15, v30
	v_max_f32_e32 v0, 0, v0
	v_max_f32_e32 v1, 0, v1
	v_subrev_u32_e32 v4, s34, v8
	s_and_b64 s[0:1], s[2:3], s[0:1]
	v_cvt_f16_f32_e32 v8, v28
	v_cvt_f16_f32_e32 v9, v29
	;; [unrolled: 1-line block ×4, first 2 shown]
	v_cndmask_b32_e64 v5, v31, 0, s[0:1]
	v_cmp_gt_i32_e64 s[0:1], s15, v26
	v_pack_b32_f16 v2, v10, v11
	v_lshl_add_u32 v5, v4, 1, v5
	s_and_b64 s[0:1], s[0:1], vcc
	buffer_store_dwordx2 v[2:3], v5, s[16:19], 0 offen
	v_subrev_u32_e32 v2, s4, v4
	v_cndmask_b32_e64 v3, v31, 0, s[0:1]
	v_pack_b32_f16 v0, v8, v9
	v_pack_b32_f16 v1, v6, v1
	v_lshl_add_u32 v2, v2, 1, v3
	buffer_store_dwordx2 v[0:1], v2, s[16:19], 0 offen
	s_endpgm
	.section	.rodata,"a",@progbits
	.p2align	6, 0x0
	.amdhsa_kernel _ZN2ck16tensor_operation6device12_GLOBAL__N_137kernel_grouped_conv_fwd_dl_multiple_dINS_32GridwiseGemmDlMultipleD_km_kn_mnILi256EDF16_fNS_5TupleIJDF16_EEEDF16_NS0_12element_wise11PassThroughES8_NS7_7AddReluELNS_25InMemoryDataOperationEnumE0ENS_16TensorDescriptorINS5_IJNS_5EmbedINS5_IJiiiEEESD_Lb0EEENS_11PassThroughIiEENS_3PadIiiiLb0EEESG_SG_NSC_INS5_IJiiEEESJ_Lb0EEESG_NS_23Merge_v2_magic_divisionISJ_EESM_NS_8RightPadIiiLb0EEESO_NS_7UnMergeISJ_Lb0EEESG_EEENS5_IJNS_8SequenceIJLi0EEEENSS_IJLi1EEEENSS_IJLi2EEEENSS_IJLi3EEEENSS_IJLi4EEEENSS_IJLi5EEEENSS_IJLi6EEEENSS_IJLi7ELi9EEEENSS_IJLi8ELi10EEEENSS_IJLi11EEEENSS_IJLi12EEEENSS_IJLi14EEEENSS_IJLi13EEEEEEENS5_IJNSS_IJLi1ELi2ELi3EEEESX_SY_SZ_NSS_IJLi7EEEENSS_IJLi8ELi9EEEENSS_IJLi10EEEES12_S13_S15_S14_NSS_IJLi15ELi16EEEENSS_IJLi17EEEEEEENSS_IJLi15ELi17ELi16EEEElEENSB_INS5_IJSQ_SO_SO_SQ_SG_EEENS5_IJST_SU_SV_SX_SW_EEENS5_IJNSS_IJLi1ELi2EEEESW_SX_NSS_IJLi5ELi6EEEES18_EEENSS_IJLi5ELi7ELi6EEEElEENSB_INS5_IJSK_SO_SO_EEENS5_IJST_SU_SV_EEENS5_IJS1I_SW_SX_EEENSS_IJLi3ELi4EEEElEELi128ELi128ELi16ELi2ELi4ELi4ELi1ENSS_IJLi8ELi2EEEES1S_NSS_IJLi8ELi1ELi1ELi2EEEENSS_IJLi2ELi1ELi128ELi1EEEENSS_IJLi1ELi2ELi0ELi3EEEES1V_NSS_IJLi4ELi1ELi1ELi2EEEES1V_NSS_IJLi1ELi1ELi1ELi2EEEES1T_S1U_S1V_S1V_S1W_S1V_S1X_NSS_IJLi0ELi1ELi2ELi3ELi4ELi5EEEELi5ELi4EEEDF16_NS5_IJPKDF16_EEEDF16_S8_S8_S9_NSB_INS5_IJSE_SG_SI_SG_SG_SK_SG_SM_SM_SO_SO_SQ_SG_SG_NSP_INS5_IJiNS_17integral_constantIiLi128EEEEEELb0EEENSF_INS23_IiLi2EEEEEEEENS5_IJST_SU_SV_SW_SX_SY_SZ_S10_S11_S12_S13_S14_S15_NSS_IJLi15EEEES1C_NSS_IJLi16EEEEEEENS5_IJS17_SX_SY_SZ_S18_S19_S1A_S12_S13_S15_S14_S1B_S1C_NSS_IJLi18EEEENSS_IJLi19ELi20EEEENSS_IJLi21EEEEEEENSS_IJLi18ELi19ELi20ELi21EEEElEENSB_INS5_IJSQ_SO_SO_SQ_SG_SG_S26_S28_EEENS5_IJST_SU_SV_SX_SW_SY_S18_SZ_EEENS5_IJS1I_SW_SX_S1J_S18_NSS_IJLi8EEEENSS_IJLi9ELi10EEEES12_EEENSS_IJLi8ELi9ELi10ELi11EEEElEENS5_IJNSB_INS5_IJSK_SO_SO_NSP_INS5_IJiS27_NS23_IiLi64EEEEEELb0EEES2S_EEENS5_IJST_SU_SV_SW_SX_EEENS5_IJS1I_SW_SX_NSS_IJLi5ELi6ELi7EEEENSS_IJLi8ELi9ELi10EEEEEEENSS_IJLi5ELi6ELi7ELi8ELi9ELi10EEEElEEEEES2Z_NS_31BlockToCTileMap_M00_N00_M01_N01ILi128ELi128ES1R_Lb0EEENS1_30ComputePtrOffsetOfStridedBatchILi1ELi1ELi1EvEELb1ELb1EEEvPKT0_S37_T1_PT2_T3_T4_T5_iT6_T7_T8_T9_T10_T11_
		.amdhsa_group_segment_fixed_size 32768
		.amdhsa_private_segment_fixed_size 168
		.amdhsa_kernarg_size 904
		.amdhsa_user_sgpr_count 6
		.amdhsa_user_sgpr_private_segment_buffer 1
		.amdhsa_user_sgpr_dispatch_ptr 0
		.amdhsa_user_sgpr_queue_ptr 0
		.amdhsa_user_sgpr_kernarg_segment_ptr 1
		.amdhsa_user_sgpr_dispatch_id 0
		.amdhsa_user_sgpr_flat_scratch_init 0
		.amdhsa_user_sgpr_private_segment_size 0
		.amdhsa_uses_dynamic_stack 0
		.amdhsa_system_sgpr_private_segment_wavefront_offset 1
		.amdhsa_system_sgpr_workgroup_id_x 1
		.amdhsa_system_sgpr_workgroup_id_y 0
		.amdhsa_system_sgpr_workgroup_id_z 0
		.amdhsa_system_sgpr_workgroup_info 0
		.amdhsa_system_vgpr_workitem_id 0
		.amdhsa_next_free_vgpr 128
		.amdhsa_next_free_sgpr 98
		.amdhsa_reserve_vcc 1
		.amdhsa_reserve_flat_scratch 0
		.amdhsa_float_round_mode_32 0
		.amdhsa_float_round_mode_16_64 0
		.amdhsa_float_denorm_mode_32 3
		.amdhsa_float_denorm_mode_16_64 3
		.amdhsa_dx10_clamp 1
		.amdhsa_ieee_mode 1
		.amdhsa_fp16_overflow 0
		.amdhsa_exception_fp_ieee_invalid_op 0
		.amdhsa_exception_fp_denorm_src 0
		.amdhsa_exception_fp_ieee_div_zero 0
		.amdhsa_exception_fp_ieee_overflow 0
		.amdhsa_exception_fp_ieee_underflow 0
		.amdhsa_exception_fp_ieee_inexact 0
		.amdhsa_exception_int_div_zero 0
	.end_amdhsa_kernel
	.section	.text._ZN2ck16tensor_operation6device12_GLOBAL__N_137kernel_grouped_conv_fwd_dl_multiple_dINS_32GridwiseGemmDlMultipleD_km_kn_mnILi256EDF16_fNS_5TupleIJDF16_EEEDF16_NS0_12element_wise11PassThroughES8_NS7_7AddReluELNS_25InMemoryDataOperationEnumE0ENS_16TensorDescriptorINS5_IJNS_5EmbedINS5_IJiiiEEESD_Lb0EEENS_11PassThroughIiEENS_3PadIiiiLb0EEESG_SG_NSC_INS5_IJiiEEESJ_Lb0EEESG_NS_23Merge_v2_magic_divisionISJ_EESM_NS_8RightPadIiiLb0EEESO_NS_7UnMergeISJ_Lb0EEESG_EEENS5_IJNS_8SequenceIJLi0EEEENSS_IJLi1EEEENSS_IJLi2EEEENSS_IJLi3EEEENSS_IJLi4EEEENSS_IJLi5EEEENSS_IJLi6EEEENSS_IJLi7ELi9EEEENSS_IJLi8ELi10EEEENSS_IJLi11EEEENSS_IJLi12EEEENSS_IJLi14EEEENSS_IJLi13EEEEEEENS5_IJNSS_IJLi1ELi2ELi3EEEESX_SY_SZ_NSS_IJLi7EEEENSS_IJLi8ELi9EEEENSS_IJLi10EEEES12_S13_S15_S14_NSS_IJLi15ELi16EEEENSS_IJLi17EEEEEEENSS_IJLi15ELi17ELi16EEEElEENSB_INS5_IJSQ_SO_SO_SQ_SG_EEENS5_IJST_SU_SV_SX_SW_EEENS5_IJNSS_IJLi1ELi2EEEESW_SX_NSS_IJLi5ELi6EEEES18_EEENSS_IJLi5ELi7ELi6EEEElEENSB_INS5_IJSK_SO_SO_EEENS5_IJST_SU_SV_EEENS5_IJS1I_SW_SX_EEENSS_IJLi3ELi4EEEElEELi128ELi128ELi16ELi2ELi4ELi4ELi1ENSS_IJLi8ELi2EEEES1S_NSS_IJLi8ELi1ELi1ELi2EEEENSS_IJLi2ELi1ELi128ELi1EEEENSS_IJLi1ELi2ELi0ELi3EEEES1V_NSS_IJLi4ELi1ELi1ELi2EEEES1V_NSS_IJLi1ELi1ELi1ELi2EEEES1T_S1U_S1V_S1V_S1W_S1V_S1X_NSS_IJLi0ELi1ELi2ELi3ELi4ELi5EEEELi5ELi4EEEDF16_NS5_IJPKDF16_EEEDF16_S8_S8_S9_NSB_INS5_IJSE_SG_SI_SG_SG_SK_SG_SM_SM_SO_SO_SQ_SG_SG_NSP_INS5_IJiNS_17integral_constantIiLi128EEEEEELb0EEENSF_INS23_IiLi2EEEEEEEENS5_IJST_SU_SV_SW_SX_SY_SZ_S10_S11_S12_S13_S14_S15_NSS_IJLi15EEEES1C_NSS_IJLi16EEEEEEENS5_IJS17_SX_SY_SZ_S18_S19_S1A_S12_S13_S15_S14_S1B_S1C_NSS_IJLi18EEEENSS_IJLi19ELi20EEEENSS_IJLi21EEEEEEENSS_IJLi18ELi19ELi20ELi21EEEElEENSB_INS5_IJSQ_SO_SO_SQ_SG_SG_S26_S28_EEENS5_IJST_SU_SV_SX_SW_SY_S18_SZ_EEENS5_IJS1I_SW_SX_S1J_S18_NSS_IJLi8EEEENSS_IJLi9ELi10EEEES12_EEENSS_IJLi8ELi9ELi10ELi11EEEElEENS5_IJNSB_INS5_IJSK_SO_SO_NSP_INS5_IJiS27_NS23_IiLi64EEEEEELb0EEES2S_EEENS5_IJST_SU_SV_SW_SX_EEENS5_IJS1I_SW_SX_NSS_IJLi5ELi6ELi7EEEENSS_IJLi8ELi9ELi10EEEEEEENSS_IJLi5ELi6ELi7ELi8ELi9ELi10EEEElEEEEES2Z_NS_31BlockToCTileMap_M00_N00_M01_N01ILi128ELi128ES1R_Lb0EEENS1_30ComputePtrOffsetOfStridedBatchILi1ELi1ELi1EvEELb1ELb1EEEvPKT0_S37_T1_PT2_T3_T4_T5_iT6_T7_T8_T9_T10_T11_,"axG",@progbits,_ZN2ck16tensor_operation6device12_GLOBAL__N_137kernel_grouped_conv_fwd_dl_multiple_dINS_32GridwiseGemmDlMultipleD_km_kn_mnILi256EDF16_fNS_5TupleIJDF16_EEEDF16_NS0_12element_wise11PassThroughES8_NS7_7AddReluELNS_25InMemoryDataOperationEnumE0ENS_16TensorDescriptorINS5_IJNS_5EmbedINS5_IJiiiEEESD_Lb0EEENS_11PassThroughIiEENS_3PadIiiiLb0EEESG_SG_NSC_INS5_IJiiEEESJ_Lb0EEESG_NS_23Merge_v2_magic_divisionISJ_EESM_NS_8RightPadIiiLb0EEESO_NS_7UnMergeISJ_Lb0EEESG_EEENS5_IJNS_8SequenceIJLi0EEEENSS_IJLi1EEEENSS_IJLi2EEEENSS_IJLi3EEEENSS_IJLi4EEEENSS_IJLi5EEEENSS_IJLi6EEEENSS_IJLi7ELi9EEEENSS_IJLi8ELi10EEEENSS_IJLi11EEEENSS_IJLi12EEEENSS_IJLi14EEEENSS_IJLi13EEEEEEENS5_IJNSS_IJLi1ELi2ELi3EEEESX_SY_SZ_NSS_IJLi7EEEENSS_IJLi8ELi9EEEENSS_IJLi10EEEES12_S13_S15_S14_NSS_IJLi15ELi16EEEENSS_IJLi17EEEEEEENSS_IJLi15ELi17ELi16EEEElEENSB_INS5_IJSQ_SO_SO_SQ_SG_EEENS5_IJST_SU_SV_SX_SW_EEENS5_IJNSS_IJLi1ELi2EEEESW_SX_NSS_IJLi5ELi6EEEES18_EEENSS_IJLi5ELi7ELi6EEEElEENSB_INS5_IJSK_SO_SO_EEENS5_IJST_SU_SV_EEENS5_IJS1I_SW_SX_EEENSS_IJLi3ELi4EEEElEELi128ELi128ELi16ELi2ELi4ELi4ELi1ENSS_IJLi8ELi2EEEES1S_NSS_IJLi8ELi1ELi1ELi2EEEENSS_IJLi2ELi1ELi128ELi1EEEENSS_IJLi1ELi2ELi0ELi3EEEES1V_NSS_IJLi4ELi1ELi1ELi2EEEES1V_NSS_IJLi1ELi1ELi1ELi2EEEES1T_S1U_S1V_S1V_S1W_S1V_S1X_NSS_IJLi0ELi1ELi2ELi3ELi4ELi5EEEELi5ELi4EEEDF16_NS5_IJPKDF16_EEEDF16_S8_S8_S9_NSB_INS5_IJSE_SG_SI_SG_SG_SK_SG_SM_SM_SO_SO_SQ_SG_SG_NSP_INS5_IJiNS_17integral_constantIiLi128EEEEEELb0EEENSF_INS23_IiLi2EEEEEEEENS5_IJST_SU_SV_SW_SX_SY_SZ_S10_S11_S12_S13_S14_S15_NSS_IJLi15EEEES1C_NSS_IJLi16EEEEEEENS5_IJS17_SX_SY_SZ_S18_S19_S1A_S12_S13_S15_S14_S1B_S1C_NSS_IJLi18EEEENSS_IJLi19ELi20EEEENSS_IJLi21EEEEEEENSS_IJLi18ELi19ELi20ELi21EEEElEENSB_INS5_IJSQ_SO_SO_SQ_SG_SG_S26_S28_EEENS5_IJST_SU_SV_SX_SW_SY_S18_SZ_EEENS5_IJS1I_SW_SX_S1J_S18_NSS_IJLi8EEEENSS_IJLi9ELi10EEEES12_EEENSS_IJLi8ELi9ELi10ELi11EEEElEENS5_IJNSB_INS5_IJSK_SO_SO_NSP_INS5_IJiS27_NS23_IiLi64EEEEEELb0EEES2S_EEENS5_IJST_SU_SV_SW_SX_EEENS5_IJS1I_SW_SX_NSS_IJLi5ELi6ELi7EEEENSS_IJLi8ELi9ELi10EEEEEEENSS_IJLi5ELi6ELi7ELi8ELi9ELi10EEEElEEEEES2Z_NS_31BlockToCTileMap_M00_N00_M01_N01ILi128ELi128ES1R_Lb0EEENS1_30ComputePtrOffsetOfStridedBatchILi1ELi1ELi1EvEELb1ELb1EEEvPKT0_S37_T1_PT2_T3_T4_T5_iT6_T7_T8_T9_T10_T11_,comdat
.Lfunc_end1:
	.size	_ZN2ck16tensor_operation6device12_GLOBAL__N_137kernel_grouped_conv_fwd_dl_multiple_dINS_32GridwiseGemmDlMultipleD_km_kn_mnILi256EDF16_fNS_5TupleIJDF16_EEEDF16_NS0_12element_wise11PassThroughES8_NS7_7AddReluELNS_25InMemoryDataOperationEnumE0ENS_16TensorDescriptorINS5_IJNS_5EmbedINS5_IJiiiEEESD_Lb0EEENS_11PassThroughIiEENS_3PadIiiiLb0EEESG_SG_NSC_INS5_IJiiEEESJ_Lb0EEESG_NS_23Merge_v2_magic_divisionISJ_EESM_NS_8RightPadIiiLb0EEESO_NS_7UnMergeISJ_Lb0EEESG_EEENS5_IJNS_8SequenceIJLi0EEEENSS_IJLi1EEEENSS_IJLi2EEEENSS_IJLi3EEEENSS_IJLi4EEEENSS_IJLi5EEEENSS_IJLi6EEEENSS_IJLi7ELi9EEEENSS_IJLi8ELi10EEEENSS_IJLi11EEEENSS_IJLi12EEEENSS_IJLi14EEEENSS_IJLi13EEEEEEENS5_IJNSS_IJLi1ELi2ELi3EEEESX_SY_SZ_NSS_IJLi7EEEENSS_IJLi8ELi9EEEENSS_IJLi10EEEES12_S13_S15_S14_NSS_IJLi15ELi16EEEENSS_IJLi17EEEEEEENSS_IJLi15ELi17ELi16EEEElEENSB_INS5_IJSQ_SO_SO_SQ_SG_EEENS5_IJST_SU_SV_SX_SW_EEENS5_IJNSS_IJLi1ELi2EEEESW_SX_NSS_IJLi5ELi6EEEES18_EEENSS_IJLi5ELi7ELi6EEEElEENSB_INS5_IJSK_SO_SO_EEENS5_IJST_SU_SV_EEENS5_IJS1I_SW_SX_EEENSS_IJLi3ELi4EEEElEELi128ELi128ELi16ELi2ELi4ELi4ELi1ENSS_IJLi8ELi2EEEES1S_NSS_IJLi8ELi1ELi1ELi2EEEENSS_IJLi2ELi1ELi128ELi1EEEENSS_IJLi1ELi2ELi0ELi3EEEES1V_NSS_IJLi4ELi1ELi1ELi2EEEES1V_NSS_IJLi1ELi1ELi1ELi2EEEES1T_S1U_S1V_S1V_S1W_S1V_S1X_NSS_IJLi0ELi1ELi2ELi3ELi4ELi5EEEELi5ELi4EEEDF16_NS5_IJPKDF16_EEEDF16_S8_S8_S9_NSB_INS5_IJSE_SG_SI_SG_SG_SK_SG_SM_SM_SO_SO_SQ_SG_SG_NSP_INS5_IJiNS_17integral_constantIiLi128EEEEEELb0EEENSF_INS23_IiLi2EEEEEEEENS5_IJST_SU_SV_SW_SX_SY_SZ_S10_S11_S12_S13_S14_S15_NSS_IJLi15EEEES1C_NSS_IJLi16EEEEEEENS5_IJS17_SX_SY_SZ_S18_S19_S1A_S12_S13_S15_S14_S1B_S1C_NSS_IJLi18EEEENSS_IJLi19ELi20EEEENSS_IJLi21EEEEEEENSS_IJLi18ELi19ELi20ELi21EEEElEENSB_INS5_IJSQ_SO_SO_SQ_SG_SG_S26_S28_EEENS5_IJST_SU_SV_SX_SW_SY_S18_SZ_EEENS5_IJS1I_SW_SX_S1J_S18_NSS_IJLi8EEEENSS_IJLi9ELi10EEEES12_EEENSS_IJLi8ELi9ELi10ELi11EEEElEENS5_IJNSB_INS5_IJSK_SO_SO_NSP_INS5_IJiS27_NS23_IiLi64EEEEEELb0EEES2S_EEENS5_IJST_SU_SV_SW_SX_EEENS5_IJS1I_SW_SX_NSS_IJLi5ELi6ELi7EEEENSS_IJLi8ELi9ELi10EEEEEEENSS_IJLi5ELi6ELi7ELi8ELi9ELi10EEEElEEEEES2Z_NS_31BlockToCTileMap_M00_N00_M01_N01ILi128ELi128ES1R_Lb0EEENS1_30ComputePtrOffsetOfStridedBatchILi1ELi1ELi1EvEELb1ELb1EEEvPKT0_S37_T1_PT2_T3_T4_T5_iT6_T7_T8_T9_T10_T11_, .Lfunc_end1-_ZN2ck16tensor_operation6device12_GLOBAL__N_137kernel_grouped_conv_fwd_dl_multiple_dINS_32GridwiseGemmDlMultipleD_km_kn_mnILi256EDF16_fNS_5TupleIJDF16_EEEDF16_NS0_12element_wise11PassThroughES8_NS7_7AddReluELNS_25InMemoryDataOperationEnumE0ENS_16TensorDescriptorINS5_IJNS_5EmbedINS5_IJiiiEEESD_Lb0EEENS_11PassThroughIiEENS_3PadIiiiLb0EEESG_SG_NSC_INS5_IJiiEEESJ_Lb0EEESG_NS_23Merge_v2_magic_divisionISJ_EESM_NS_8RightPadIiiLb0EEESO_NS_7UnMergeISJ_Lb0EEESG_EEENS5_IJNS_8SequenceIJLi0EEEENSS_IJLi1EEEENSS_IJLi2EEEENSS_IJLi3EEEENSS_IJLi4EEEENSS_IJLi5EEEENSS_IJLi6EEEENSS_IJLi7ELi9EEEENSS_IJLi8ELi10EEEENSS_IJLi11EEEENSS_IJLi12EEEENSS_IJLi14EEEENSS_IJLi13EEEEEEENS5_IJNSS_IJLi1ELi2ELi3EEEESX_SY_SZ_NSS_IJLi7EEEENSS_IJLi8ELi9EEEENSS_IJLi10EEEES12_S13_S15_S14_NSS_IJLi15ELi16EEEENSS_IJLi17EEEEEEENSS_IJLi15ELi17ELi16EEEElEENSB_INS5_IJSQ_SO_SO_SQ_SG_EEENS5_IJST_SU_SV_SX_SW_EEENS5_IJNSS_IJLi1ELi2EEEESW_SX_NSS_IJLi5ELi6EEEES18_EEENSS_IJLi5ELi7ELi6EEEElEENSB_INS5_IJSK_SO_SO_EEENS5_IJST_SU_SV_EEENS5_IJS1I_SW_SX_EEENSS_IJLi3ELi4EEEElEELi128ELi128ELi16ELi2ELi4ELi4ELi1ENSS_IJLi8ELi2EEEES1S_NSS_IJLi8ELi1ELi1ELi2EEEENSS_IJLi2ELi1ELi128ELi1EEEENSS_IJLi1ELi2ELi0ELi3EEEES1V_NSS_IJLi4ELi1ELi1ELi2EEEES1V_NSS_IJLi1ELi1ELi1ELi2EEEES1T_S1U_S1V_S1V_S1W_S1V_S1X_NSS_IJLi0ELi1ELi2ELi3ELi4ELi5EEEELi5ELi4EEEDF16_NS5_IJPKDF16_EEEDF16_S8_S8_S9_NSB_INS5_IJSE_SG_SI_SG_SG_SK_SG_SM_SM_SO_SO_SQ_SG_SG_NSP_INS5_IJiNS_17integral_constantIiLi128EEEEEELb0EEENSF_INS23_IiLi2EEEEEEEENS5_IJST_SU_SV_SW_SX_SY_SZ_S10_S11_S12_S13_S14_S15_NSS_IJLi15EEEES1C_NSS_IJLi16EEEEEEENS5_IJS17_SX_SY_SZ_S18_S19_S1A_S12_S13_S15_S14_S1B_S1C_NSS_IJLi18EEEENSS_IJLi19ELi20EEEENSS_IJLi21EEEEEEENSS_IJLi18ELi19ELi20ELi21EEEElEENSB_INS5_IJSQ_SO_SO_SQ_SG_SG_S26_S28_EEENS5_IJST_SU_SV_SX_SW_SY_S18_SZ_EEENS5_IJS1I_SW_SX_S1J_S18_NSS_IJLi8EEEENSS_IJLi9ELi10EEEES12_EEENSS_IJLi8ELi9ELi10ELi11EEEElEENS5_IJNSB_INS5_IJSK_SO_SO_NSP_INS5_IJiS27_NS23_IiLi64EEEEEELb0EEES2S_EEENS5_IJST_SU_SV_SW_SX_EEENS5_IJS1I_SW_SX_NSS_IJLi5ELi6ELi7EEEENSS_IJLi8ELi9ELi10EEEEEEENSS_IJLi5ELi6ELi7ELi8ELi9ELi10EEEElEEEEES2Z_NS_31BlockToCTileMap_M00_N00_M01_N01ILi128ELi128ES1R_Lb0EEENS1_30ComputePtrOffsetOfStridedBatchILi1ELi1ELi1EvEELb1ELb1EEEvPKT0_S37_T1_PT2_T3_T4_T5_iT6_T7_T8_T9_T10_T11_
                                        ; -- End function
	.set _ZN2ck16tensor_operation6device12_GLOBAL__N_137kernel_grouped_conv_fwd_dl_multiple_dINS_32GridwiseGemmDlMultipleD_km_kn_mnILi256EDF16_fNS_5TupleIJDF16_EEEDF16_NS0_12element_wise11PassThroughES8_NS7_7AddReluELNS_25InMemoryDataOperationEnumE0ENS_16TensorDescriptorINS5_IJNS_5EmbedINS5_IJiiiEEESD_Lb0EEENS_11PassThroughIiEENS_3PadIiiiLb0EEESG_SG_NSC_INS5_IJiiEEESJ_Lb0EEESG_NS_23Merge_v2_magic_divisionISJ_EESM_NS_8RightPadIiiLb0EEESO_NS_7UnMergeISJ_Lb0EEESG_EEENS5_IJNS_8SequenceIJLi0EEEENSS_IJLi1EEEENSS_IJLi2EEEENSS_IJLi3EEEENSS_IJLi4EEEENSS_IJLi5EEEENSS_IJLi6EEEENSS_IJLi7ELi9EEEENSS_IJLi8ELi10EEEENSS_IJLi11EEEENSS_IJLi12EEEENSS_IJLi14EEEENSS_IJLi13EEEEEEENS5_IJNSS_IJLi1ELi2ELi3EEEESX_SY_SZ_NSS_IJLi7EEEENSS_IJLi8ELi9EEEENSS_IJLi10EEEES12_S13_S15_S14_NSS_IJLi15ELi16EEEENSS_IJLi17EEEEEEENSS_IJLi15ELi17ELi16EEEElEENSB_INS5_IJSQ_SO_SO_SQ_SG_EEENS5_IJST_SU_SV_SX_SW_EEENS5_IJNSS_IJLi1ELi2EEEESW_SX_NSS_IJLi5ELi6EEEES18_EEENSS_IJLi5ELi7ELi6EEEElEENSB_INS5_IJSK_SO_SO_EEENS5_IJST_SU_SV_EEENS5_IJS1I_SW_SX_EEENSS_IJLi3ELi4EEEElEELi128ELi128ELi16ELi2ELi4ELi4ELi1ENSS_IJLi8ELi2EEEES1S_NSS_IJLi8ELi1ELi1ELi2EEEENSS_IJLi2ELi1ELi128ELi1EEEENSS_IJLi1ELi2ELi0ELi3EEEES1V_NSS_IJLi4ELi1ELi1ELi2EEEES1V_NSS_IJLi1ELi1ELi1ELi2EEEES1T_S1U_S1V_S1V_S1W_S1V_S1X_NSS_IJLi0ELi1ELi2ELi3ELi4ELi5EEEELi5ELi4EEEDF16_NS5_IJPKDF16_EEEDF16_S8_S8_S9_NSB_INS5_IJSE_SG_SI_SG_SG_SK_SG_SM_SM_SO_SO_SQ_SG_SG_NSP_INS5_IJiNS_17integral_constantIiLi128EEEEEELb0EEENSF_INS23_IiLi2EEEEEEEENS5_IJST_SU_SV_SW_SX_SY_SZ_S10_S11_S12_S13_S14_S15_NSS_IJLi15EEEES1C_NSS_IJLi16EEEEEEENS5_IJS17_SX_SY_SZ_S18_S19_S1A_S12_S13_S15_S14_S1B_S1C_NSS_IJLi18EEEENSS_IJLi19ELi20EEEENSS_IJLi21EEEEEEENSS_IJLi18ELi19ELi20ELi21EEEElEENSB_INS5_IJSQ_SO_SO_SQ_SG_SG_S26_S28_EEENS5_IJST_SU_SV_SX_SW_SY_S18_SZ_EEENS5_IJS1I_SW_SX_S1J_S18_NSS_IJLi8EEEENSS_IJLi9ELi10EEEES12_EEENSS_IJLi8ELi9ELi10ELi11EEEElEENS5_IJNSB_INS5_IJSK_SO_SO_NSP_INS5_IJiS27_NS23_IiLi64EEEEEELb0EEES2S_EEENS5_IJST_SU_SV_SW_SX_EEENS5_IJS1I_SW_SX_NSS_IJLi5ELi6ELi7EEEENSS_IJLi8ELi9ELi10EEEEEEENSS_IJLi5ELi6ELi7ELi8ELi9ELi10EEEElEEEEES2Z_NS_31BlockToCTileMap_M00_N00_M01_N01ILi128ELi128ES1R_Lb0EEENS1_30ComputePtrOffsetOfStridedBatchILi1ELi1ELi1EvEELb1ELb1EEEvPKT0_S37_T1_PT2_T3_T4_T5_iT6_T7_T8_T9_T10_T11_.num_vgpr, 128
	.set _ZN2ck16tensor_operation6device12_GLOBAL__N_137kernel_grouped_conv_fwd_dl_multiple_dINS_32GridwiseGemmDlMultipleD_km_kn_mnILi256EDF16_fNS_5TupleIJDF16_EEEDF16_NS0_12element_wise11PassThroughES8_NS7_7AddReluELNS_25InMemoryDataOperationEnumE0ENS_16TensorDescriptorINS5_IJNS_5EmbedINS5_IJiiiEEESD_Lb0EEENS_11PassThroughIiEENS_3PadIiiiLb0EEESG_SG_NSC_INS5_IJiiEEESJ_Lb0EEESG_NS_23Merge_v2_magic_divisionISJ_EESM_NS_8RightPadIiiLb0EEESO_NS_7UnMergeISJ_Lb0EEESG_EEENS5_IJNS_8SequenceIJLi0EEEENSS_IJLi1EEEENSS_IJLi2EEEENSS_IJLi3EEEENSS_IJLi4EEEENSS_IJLi5EEEENSS_IJLi6EEEENSS_IJLi7ELi9EEEENSS_IJLi8ELi10EEEENSS_IJLi11EEEENSS_IJLi12EEEENSS_IJLi14EEEENSS_IJLi13EEEEEEENS5_IJNSS_IJLi1ELi2ELi3EEEESX_SY_SZ_NSS_IJLi7EEEENSS_IJLi8ELi9EEEENSS_IJLi10EEEES12_S13_S15_S14_NSS_IJLi15ELi16EEEENSS_IJLi17EEEEEEENSS_IJLi15ELi17ELi16EEEElEENSB_INS5_IJSQ_SO_SO_SQ_SG_EEENS5_IJST_SU_SV_SX_SW_EEENS5_IJNSS_IJLi1ELi2EEEESW_SX_NSS_IJLi5ELi6EEEES18_EEENSS_IJLi5ELi7ELi6EEEElEENSB_INS5_IJSK_SO_SO_EEENS5_IJST_SU_SV_EEENS5_IJS1I_SW_SX_EEENSS_IJLi3ELi4EEEElEELi128ELi128ELi16ELi2ELi4ELi4ELi1ENSS_IJLi8ELi2EEEES1S_NSS_IJLi8ELi1ELi1ELi2EEEENSS_IJLi2ELi1ELi128ELi1EEEENSS_IJLi1ELi2ELi0ELi3EEEES1V_NSS_IJLi4ELi1ELi1ELi2EEEES1V_NSS_IJLi1ELi1ELi1ELi2EEEES1T_S1U_S1V_S1V_S1W_S1V_S1X_NSS_IJLi0ELi1ELi2ELi3ELi4ELi5EEEELi5ELi4EEEDF16_NS5_IJPKDF16_EEEDF16_S8_S8_S9_NSB_INS5_IJSE_SG_SI_SG_SG_SK_SG_SM_SM_SO_SO_SQ_SG_SG_NSP_INS5_IJiNS_17integral_constantIiLi128EEEEEELb0EEENSF_INS23_IiLi2EEEEEEEENS5_IJST_SU_SV_SW_SX_SY_SZ_S10_S11_S12_S13_S14_S15_NSS_IJLi15EEEES1C_NSS_IJLi16EEEEEEENS5_IJS17_SX_SY_SZ_S18_S19_S1A_S12_S13_S15_S14_S1B_S1C_NSS_IJLi18EEEENSS_IJLi19ELi20EEEENSS_IJLi21EEEEEEENSS_IJLi18ELi19ELi20ELi21EEEElEENSB_INS5_IJSQ_SO_SO_SQ_SG_SG_S26_S28_EEENS5_IJST_SU_SV_SX_SW_SY_S18_SZ_EEENS5_IJS1I_SW_SX_S1J_S18_NSS_IJLi8EEEENSS_IJLi9ELi10EEEES12_EEENSS_IJLi8ELi9ELi10ELi11EEEElEENS5_IJNSB_INS5_IJSK_SO_SO_NSP_INS5_IJiS27_NS23_IiLi64EEEEEELb0EEES2S_EEENS5_IJST_SU_SV_SW_SX_EEENS5_IJS1I_SW_SX_NSS_IJLi5ELi6ELi7EEEENSS_IJLi8ELi9ELi10EEEEEEENSS_IJLi5ELi6ELi7ELi8ELi9ELi10EEEElEEEEES2Z_NS_31BlockToCTileMap_M00_N00_M01_N01ILi128ELi128ES1R_Lb0EEENS1_30ComputePtrOffsetOfStridedBatchILi1ELi1ELi1EvEELb1ELb1EEEvPKT0_S37_T1_PT2_T3_T4_T5_iT6_T7_T8_T9_T10_T11_.num_agpr, 0
	.set _ZN2ck16tensor_operation6device12_GLOBAL__N_137kernel_grouped_conv_fwd_dl_multiple_dINS_32GridwiseGemmDlMultipleD_km_kn_mnILi256EDF16_fNS_5TupleIJDF16_EEEDF16_NS0_12element_wise11PassThroughES8_NS7_7AddReluELNS_25InMemoryDataOperationEnumE0ENS_16TensorDescriptorINS5_IJNS_5EmbedINS5_IJiiiEEESD_Lb0EEENS_11PassThroughIiEENS_3PadIiiiLb0EEESG_SG_NSC_INS5_IJiiEEESJ_Lb0EEESG_NS_23Merge_v2_magic_divisionISJ_EESM_NS_8RightPadIiiLb0EEESO_NS_7UnMergeISJ_Lb0EEESG_EEENS5_IJNS_8SequenceIJLi0EEEENSS_IJLi1EEEENSS_IJLi2EEEENSS_IJLi3EEEENSS_IJLi4EEEENSS_IJLi5EEEENSS_IJLi6EEEENSS_IJLi7ELi9EEEENSS_IJLi8ELi10EEEENSS_IJLi11EEEENSS_IJLi12EEEENSS_IJLi14EEEENSS_IJLi13EEEEEEENS5_IJNSS_IJLi1ELi2ELi3EEEESX_SY_SZ_NSS_IJLi7EEEENSS_IJLi8ELi9EEEENSS_IJLi10EEEES12_S13_S15_S14_NSS_IJLi15ELi16EEEENSS_IJLi17EEEEEEENSS_IJLi15ELi17ELi16EEEElEENSB_INS5_IJSQ_SO_SO_SQ_SG_EEENS5_IJST_SU_SV_SX_SW_EEENS5_IJNSS_IJLi1ELi2EEEESW_SX_NSS_IJLi5ELi6EEEES18_EEENSS_IJLi5ELi7ELi6EEEElEENSB_INS5_IJSK_SO_SO_EEENS5_IJST_SU_SV_EEENS5_IJS1I_SW_SX_EEENSS_IJLi3ELi4EEEElEELi128ELi128ELi16ELi2ELi4ELi4ELi1ENSS_IJLi8ELi2EEEES1S_NSS_IJLi8ELi1ELi1ELi2EEEENSS_IJLi2ELi1ELi128ELi1EEEENSS_IJLi1ELi2ELi0ELi3EEEES1V_NSS_IJLi4ELi1ELi1ELi2EEEES1V_NSS_IJLi1ELi1ELi1ELi2EEEES1T_S1U_S1V_S1V_S1W_S1V_S1X_NSS_IJLi0ELi1ELi2ELi3ELi4ELi5EEEELi5ELi4EEEDF16_NS5_IJPKDF16_EEEDF16_S8_S8_S9_NSB_INS5_IJSE_SG_SI_SG_SG_SK_SG_SM_SM_SO_SO_SQ_SG_SG_NSP_INS5_IJiNS_17integral_constantIiLi128EEEEEELb0EEENSF_INS23_IiLi2EEEEEEEENS5_IJST_SU_SV_SW_SX_SY_SZ_S10_S11_S12_S13_S14_S15_NSS_IJLi15EEEES1C_NSS_IJLi16EEEEEEENS5_IJS17_SX_SY_SZ_S18_S19_S1A_S12_S13_S15_S14_S1B_S1C_NSS_IJLi18EEEENSS_IJLi19ELi20EEEENSS_IJLi21EEEEEEENSS_IJLi18ELi19ELi20ELi21EEEElEENSB_INS5_IJSQ_SO_SO_SQ_SG_SG_S26_S28_EEENS5_IJST_SU_SV_SX_SW_SY_S18_SZ_EEENS5_IJS1I_SW_SX_S1J_S18_NSS_IJLi8EEEENSS_IJLi9ELi10EEEES12_EEENSS_IJLi8ELi9ELi10ELi11EEEElEENS5_IJNSB_INS5_IJSK_SO_SO_NSP_INS5_IJiS27_NS23_IiLi64EEEEEELb0EEES2S_EEENS5_IJST_SU_SV_SW_SX_EEENS5_IJS1I_SW_SX_NSS_IJLi5ELi6ELi7EEEENSS_IJLi8ELi9ELi10EEEEEEENSS_IJLi5ELi6ELi7ELi8ELi9ELi10EEEElEEEEES2Z_NS_31BlockToCTileMap_M00_N00_M01_N01ILi128ELi128ES1R_Lb0EEENS1_30ComputePtrOffsetOfStridedBatchILi1ELi1ELi1EvEELb1ELb1EEEvPKT0_S37_T1_PT2_T3_T4_T5_iT6_T7_T8_T9_T10_T11_.numbered_sgpr, 64
	.set _ZN2ck16tensor_operation6device12_GLOBAL__N_137kernel_grouped_conv_fwd_dl_multiple_dINS_32GridwiseGemmDlMultipleD_km_kn_mnILi256EDF16_fNS_5TupleIJDF16_EEEDF16_NS0_12element_wise11PassThroughES8_NS7_7AddReluELNS_25InMemoryDataOperationEnumE0ENS_16TensorDescriptorINS5_IJNS_5EmbedINS5_IJiiiEEESD_Lb0EEENS_11PassThroughIiEENS_3PadIiiiLb0EEESG_SG_NSC_INS5_IJiiEEESJ_Lb0EEESG_NS_23Merge_v2_magic_divisionISJ_EESM_NS_8RightPadIiiLb0EEESO_NS_7UnMergeISJ_Lb0EEESG_EEENS5_IJNS_8SequenceIJLi0EEEENSS_IJLi1EEEENSS_IJLi2EEEENSS_IJLi3EEEENSS_IJLi4EEEENSS_IJLi5EEEENSS_IJLi6EEEENSS_IJLi7ELi9EEEENSS_IJLi8ELi10EEEENSS_IJLi11EEEENSS_IJLi12EEEENSS_IJLi14EEEENSS_IJLi13EEEEEEENS5_IJNSS_IJLi1ELi2ELi3EEEESX_SY_SZ_NSS_IJLi7EEEENSS_IJLi8ELi9EEEENSS_IJLi10EEEES12_S13_S15_S14_NSS_IJLi15ELi16EEEENSS_IJLi17EEEEEEENSS_IJLi15ELi17ELi16EEEElEENSB_INS5_IJSQ_SO_SO_SQ_SG_EEENS5_IJST_SU_SV_SX_SW_EEENS5_IJNSS_IJLi1ELi2EEEESW_SX_NSS_IJLi5ELi6EEEES18_EEENSS_IJLi5ELi7ELi6EEEElEENSB_INS5_IJSK_SO_SO_EEENS5_IJST_SU_SV_EEENS5_IJS1I_SW_SX_EEENSS_IJLi3ELi4EEEElEELi128ELi128ELi16ELi2ELi4ELi4ELi1ENSS_IJLi8ELi2EEEES1S_NSS_IJLi8ELi1ELi1ELi2EEEENSS_IJLi2ELi1ELi128ELi1EEEENSS_IJLi1ELi2ELi0ELi3EEEES1V_NSS_IJLi4ELi1ELi1ELi2EEEES1V_NSS_IJLi1ELi1ELi1ELi2EEEES1T_S1U_S1V_S1V_S1W_S1V_S1X_NSS_IJLi0ELi1ELi2ELi3ELi4ELi5EEEELi5ELi4EEEDF16_NS5_IJPKDF16_EEEDF16_S8_S8_S9_NSB_INS5_IJSE_SG_SI_SG_SG_SK_SG_SM_SM_SO_SO_SQ_SG_SG_NSP_INS5_IJiNS_17integral_constantIiLi128EEEEEELb0EEENSF_INS23_IiLi2EEEEEEEENS5_IJST_SU_SV_SW_SX_SY_SZ_S10_S11_S12_S13_S14_S15_NSS_IJLi15EEEES1C_NSS_IJLi16EEEEEEENS5_IJS17_SX_SY_SZ_S18_S19_S1A_S12_S13_S15_S14_S1B_S1C_NSS_IJLi18EEEENSS_IJLi19ELi20EEEENSS_IJLi21EEEEEEENSS_IJLi18ELi19ELi20ELi21EEEElEENSB_INS5_IJSQ_SO_SO_SQ_SG_SG_S26_S28_EEENS5_IJST_SU_SV_SX_SW_SY_S18_SZ_EEENS5_IJS1I_SW_SX_S1J_S18_NSS_IJLi8EEEENSS_IJLi9ELi10EEEES12_EEENSS_IJLi8ELi9ELi10ELi11EEEElEENS5_IJNSB_INS5_IJSK_SO_SO_NSP_INS5_IJiS27_NS23_IiLi64EEEEEELb0EEES2S_EEENS5_IJST_SU_SV_SW_SX_EEENS5_IJS1I_SW_SX_NSS_IJLi5ELi6ELi7EEEENSS_IJLi8ELi9ELi10EEEEEEENSS_IJLi5ELi6ELi7ELi8ELi9ELi10EEEElEEEEES2Z_NS_31BlockToCTileMap_M00_N00_M01_N01ILi128ELi128ES1R_Lb0EEENS1_30ComputePtrOffsetOfStridedBatchILi1ELi1ELi1EvEELb1ELb1EEEvPKT0_S37_T1_PT2_T3_T4_T5_iT6_T7_T8_T9_T10_T11_.num_named_barrier, 0
	.set _ZN2ck16tensor_operation6device12_GLOBAL__N_137kernel_grouped_conv_fwd_dl_multiple_dINS_32GridwiseGemmDlMultipleD_km_kn_mnILi256EDF16_fNS_5TupleIJDF16_EEEDF16_NS0_12element_wise11PassThroughES8_NS7_7AddReluELNS_25InMemoryDataOperationEnumE0ENS_16TensorDescriptorINS5_IJNS_5EmbedINS5_IJiiiEEESD_Lb0EEENS_11PassThroughIiEENS_3PadIiiiLb0EEESG_SG_NSC_INS5_IJiiEEESJ_Lb0EEESG_NS_23Merge_v2_magic_divisionISJ_EESM_NS_8RightPadIiiLb0EEESO_NS_7UnMergeISJ_Lb0EEESG_EEENS5_IJNS_8SequenceIJLi0EEEENSS_IJLi1EEEENSS_IJLi2EEEENSS_IJLi3EEEENSS_IJLi4EEEENSS_IJLi5EEEENSS_IJLi6EEEENSS_IJLi7ELi9EEEENSS_IJLi8ELi10EEEENSS_IJLi11EEEENSS_IJLi12EEEENSS_IJLi14EEEENSS_IJLi13EEEEEEENS5_IJNSS_IJLi1ELi2ELi3EEEESX_SY_SZ_NSS_IJLi7EEEENSS_IJLi8ELi9EEEENSS_IJLi10EEEES12_S13_S15_S14_NSS_IJLi15ELi16EEEENSS_IJLi17EEEEEEENSS_IJLi15ELi17ELi16EEEElEENSB_INS5_IJSQ_SO_SO_SQ_SG_EEENS5_IJST_SU_SV_SX_SW_EEENS5_IJNSS_IJLi1ELi2EEEESW_SX_NSS_IJLi5ELi6EEEES18_EEENSS_IJLi5ELi7ELi6EEEElEENSB_INS5_IJSK_SO_SO_EEENS5_IJST_SU_SV_EEENS5_IJS1I_SW_SX_EEENSS_IJLi3ELi4EEEElEELi128ELi128ELi16ELi2ELi4ELi4ELi1ENSS_IJLi8ELi2EEEES1S_NSS_IJLi8ELi1ELi1ELi2EEEENSS_IJLi2ELi1ELi128ELi1EEEENSS_IJLi1ELi2ELi0ELi3EEEES1V_NSS_IJLi4ELi1ELi1ELi2EEEES1V_NSS_IJLi1ELi1ELi1ELi2EEEES1T_S1U_S1V_S1V_S1W_S1V_S1X_NSS_IJLi0ELi1ELi2ELi3ELi4ELi5EEEELi5ELi4EEEDF16_NS5_IJPKDF16_EEEDF16_S8_S8_S9_NSB_INS5_IJSE_SG_SI_SG_SG_SK_SG_SM_SM_SO_SO_SQ_SG_SG_NSP_INS5_IJiNS_17integral_constantIiLi128EEEEEELb0EEENSF_INS23_IiLi2EEEEEEEENS5_IJST_SU_SV_SW_SX_SY_SZ_S10_S11_S12_S13_S14_S15_NSS_IJLi15EEEES1C_NSS_IJLi16EEEEEEENS5_IJS17_SX_SY_SZ_S18_S19_S1A_S12_S13_S15_S14_S1B_S1C_NSS_IJLi18EEEENSS_IJLi19ELi20EEEENSS_IJLi21EEEEEEENSS_IJLi18ELi19ELi20ELi21EEEElEENSB_INS5_IJSQ_SO_SO_SQ_SG_SG_S26_S28_EEENS5_IJST_SU_SV_SX_SW_SY_S18_SZ_EEENS5_IJS1I_SW_SX_S1J_S18_NSS_IJLi8EEEENSS_IJLi9ELi10EEEES12_EEENSS_IJLi8ELi9ELi10ELi11EEEElEENS5_IJNSB_INS5_IJSK_SO_SO_NSP_INS5_IJiS27_NS23_IiLi64EEEEEELb0EEES2S_EEENS5_IJST_SU_SV_SW_SX_EEENS5_IJS1I_SW_SX_NSS_IJLi5ELi6ELi7EEEENSS_IJLi8ELi9ELi10EEEEEEENSS_IJLi5ELi6ELi7ELi8ELi9ELi10EEEElEEEEES2Z_NS_31BlockToCTileMap_M00_N00_M01_N01ILi128ELi128ES1R_Lb0EEENS1_30ComputePtrOffsetOfStridedBatchILi1ELi1ELi1EvEELb1ELb1EEEvPKT0_S37_T1_PT2_T3_T4_T5_iT6_T7_T8_T9_T10_T11_.private_seg_size, 168
	.set _ZN2ck16tensor_operation6device12_GLOBAL__N_137kernel_grouped_conv_fwd_dl_multiple_dINS_32GridwiseGemmDlMultipleD_km_kn_mnILi256EDF16_fNS_5TupleIJDF16_EEEDF16_NS0_12element_wise11PassThroughES8_NS7_7AddReluELNS_25InMemoryDataOperationEnumE0ENS_16TensorDescriptorINS5_IJNS_5EmbedINS5_IJiiiEEESD_Lb0EEENS_11PassThroughIiEENS_3PadIiiiLb0EEESG_SG_NSC_INS5_IJiiEEESJ_Lb0EEESG_NS_23Merge_v2_magic_divisionISJ_EESM_NS_8RightPadIiiLb0EEESO_NS_7UnMergeISJ_Lb0EEESG_EEENS5_IJNS_8SequenceIJLi0EEEENSS_IJLi1EEEENSS_IJLi2EEEENSS_IJLi3EEEENSS_IJLi4EEEENSS_IJLi5EEEENSS_IJLi6EEEENSS_IJLi7ELi9EEEENSS_IJLi8ELi10EEEENSS_IJLi11EEEENSS_IJLi12EEEENSS_IJLi14EEEENSS_IJLi13EEEEEEENS5_IJNSS_IJLi1ELi2ELi3EEEESX_SY_SZ_NSS_IJLi7EEEENSS_IJLi8ELi9EEEENSS_IJLi10EEEES12_S13_S15_S14_NSS_IJLi15ELi16EEEENSS_IJLi17EEEEEEENSS_IJLi15ELi17ELi16EEEElEENSB_INS5_IJSQ_SO_SO_SQ_SG_EEENS5_IJST_SU_SV_SX_SW_EEENS5_IJNSS_IJLi1ELi2EEEESW_SX_NSS_IJLi5ELi6EEEES18_EEENSS_IJLi5ELi7ELi6EEEElEENSB_INS5_IJSK_SO_SO_EEENS5_IJST_SU_SV_EEENS5_IJS1I_SW_SX_EEENSS_IJLi3ELi4EEEElEELi128ELi128ELi16ELi2ELi4ELi4ELi1ENSS_IJLi8ELi2EEEES1S_NSS_IJLi8ELi1ELi1ELi2EEEENSS_IJLi2ELi1ELi128ELi1EEEENSS_IJLi1ELi2ELi0ELi3EEEES1V_NSS_IJLi4ELi1ELi1ELi2EEEES1V_NSS_IJLi1ELi1ELi1ELi2EEEES1T_S1U_S1V_S1V_S1W_S1V_S1X_NSS_IJLi0ELi1ELi2ELi3ELi4ELi5EEEELi5ELi4EEEDF16_NS5_IJPKDF16_EEEDF16_S8_S8_S9_NSB_INS5_IJSE_SG_SI_SG_SG_SK_SG_SM_SM_SO_SO_SQ_SG_SG_NSP_INS5_IJiNS_17integral_constantIiLi128EEEEEELb0EEENSF_INS23_IiLi2EEEEEEEENS5_IJST_SU_SV_SW_SX_SY_SZ_S10_S11_S12_S13_S14_S15_NSS_IJLi15EEEES1C_NSS_IJLi16EEEEEEENS5_IJS17_SX_SY_SZ_S18_S19_S1A_S12_S13_S15_S14_S1B_S1C_NSS_IJLi18EEEENSS_IJLi19ELi20EEEENSS_IJLi21EEEEEEENSS_IJLi18ELi19ELi20ELi21EEEElEENSB_INS5_IJSQ_SO_SO_SQ_SG_SG_S26_S28_EEENS5_IJST_SU_SV_SX_SW_SY_S18_SZ_EEENS5_IJS1I_SW_SX_S1J_S18_NSS_IJLi8EEEENSS_IJLi9ELi10EEEES12_EEENSS_IJLi8ELi9ELi10ELi11EEEElEENS5_IJNSB_INS5_IJSK_SO_SO_NSP_INS5_IJiS27_NS23_IiLi64EEEEEELb0EEES2S_EEENS5_IJST_SU_SV_SW_SX_EEENS5_IJS1I_SW_SX_NSS_IJLi5ELi6ELi7EEEENSS_IJLi8ELi9ELi10EEEEEEENSS_IJLi5ELi6ELi7ELi8ELi9ELi10EEEElEEEEES2Z_NS_31BlockToCTileMap_M00_N00_M01_N01ILi128ELi128ES1R_Lb0EEENS1_30ComputePtrOffsetOfStridedBatchILi1ELi1ELi1EvEELb1ELb1EEEvPKT0_S37_T1_PT2_T3_T4_T5_iT6_T7_T8_T9_T10_T11_.uses_vcc, 1
	.set _ZN2ck16tensor_operation6device12_GLOBAL__N_137kernel_grouped_conv_fwd_dl_multiple_dINS_32GridwiseGemmDlMultipleD_km_kn_mnILi256EDF16_fNS_5TupleIJDF16_EEEDF16_NS0_12element_wise11PassThroughES8_NS7_7AddReluELNS_25InMemoryDataOperationEnumE0ENS_16TensorDescriptorINS5_IJNS_5EmbedINS5_IJiiiEEESD_Lb0EEENS_11PassThroughIiEENS_3PadIiiiLb0EEESG_SG_NSC_INS5_IJiiEEESJ_Lb0EEESG_NS_23Merge_v2_magic_divisionISJ_EESM_NS_8RightPadIiiLb0EEESO_NS_7UnMergeISJ_Lb0EEESG_EEENS5_IJNS_8SequenceIJLi0EEEENSS_IJLi1EEEENSS_IJLi2EEEENSS_IJLi3EEEENSS_IJLi4EEEENSS_IJLi5EEEENSS_IJLi6EEEENSS_IJLi7ELi9EEEENSS_IJLi8ELi10EEEENSS_IJLi11EEEENSS_IJLi12EEEENSS_IJLi14EEEENSS_IJLi13EEEEEEENS5_IJNSS_IJLi1ELi2ELi3EEEESX_SY_SZ_NSS_IJLi7EEEENSS_IJLi8ELi9EEEENSS_IJLi10EEEES12_S13_S15_S14_NSS_IJLi15ELi16EEEENSS_IJLi17EEEEEEENSS_IJLi15ELi17ELi16EEEElEENSB_INS5_IJSQ_SO_SO_SQ_SG_EEENS5_IJST_SU_SV_SX_SW_EEENS5_IJNSS_IJLi1ELi2EEEESW_SX_NSS_IJLi5ELi6EEEES18_EEENSS_IJLi5ELi7ELi6EEEElEENSB_INS5_IJSK_SO_SO_EEENS5_IJST_SU_SV_EEENS5_IJS1I_SW_SX_EEENSS_IJLi3ELi4EEEElEELi128ELi128ELi16ELi2ELi4ELi4ELi1ENSS_IJLi8ELi2EEEES1S_NSS_IJLi8ELi1ELi1ELi2EEEENSS_IJLi2ELi1ELi128ELi1EEEENSS_IJLi1ELi2ELi0ELi3EEEES1V_NSS_IJLi4ELi1ELi1ELi2EEEES1V_NSS_IJLi1ELi1ELi1ELi2EEEES1T_S1U_S1V_S1V_S1W_S1V_S1X_NSS_IJLi0ELi1ELi2ELi3ELi4ELi5EEEELi5ELi4EEEDF16_NS5_IJPKDF16_EEEDF16_S8_S8_S9_NSB_INS5_IJSE_SG_SI_SG_SG_SK_SG_SM_SM_SO_SO_SQ_SG_SG_NSP_INS5_IJiNS_17integral_constantIiLi128EEEEEELb0EEENSF_INS23_IiLi2EEEEEEEENS5_IJST_SU_SV_SW_SX_SY_SZ_S10_S11_S12_S13_S14_S15_NSS_IJLi15EEEES1C_NSS_IJLi16EEEEEEENS5_IJS17_SX_SY_SZ_S18_S19_S1A_S12_S13_S15_S14_S1B_S1C_NSS_IJLi18EEEENSS_IJLi19ELi20EEEENSS_IJLi21EEEEEEENSS_IJLi18ELi19ELi20ELi21EEEElEENSB_INS5_IJSQ_SO_SO_SQ_SG_SG_S26_S28_EEENS5_IJST_SU_SV_SX_SW_SY_S18_SZ_EEENS5_IJS1I_SW_SX_S1J_S18_NSS_IJLi8EEEENSS_IJLi9ELi10EEEES12_EEENSS_IJLi8ELi9ELi10ELi11EEEElEENS5_IJNSB_INS5_IJSK_SO_SO_NSP_INS5_IJiS27_NS23_IiLi64EEEEEELb0EEES2S_EEENS5_IJST_SU_SV_SW_SX_EEENS5_IJS1I_SW_SX_NSS_IJLi5ELi6ELi7EEEENSS_IJLi8ELi9ELi10EEEEEEENSS_IJLi5ELi6ELi7ELi8ELi9ELi10EEEElEEEEES2Z_NS_31BlockToCTileMap_M00_N00_M01_N01ILi128ELi128ES1R_Lb0EEENS1_30ComputePtrOffsetOfStridedBatchILi1ELi1ELi1EvEELb1ELb1EEEvPKT0_S37_T1_PT2_T3_T4_T5_iT6_T7_T8_T9_T10_T11_.uses_flat_scratch, 0
	.set _ZN2ck16tensor_operation6device12_GLOBAL__N_137kernel_grouped_conv_fwd_dl_multiple_dINS_32GridwiseGemmDlMultipleD_km_kn_mnILi256EDF16_fNS_5TupleIJDF16_EEEDF16_NS0_12element_wise11PassThroughES8_NS7_7AddReluELNS_25InMemoryDataOperationEnumE0ENS_16TensorDescriptorINS5_IJNS_5EmbedINS5_IJiiiEEESD_Lb0EEENS_11PassThroughIiEENS_3PadIiiiLb0EEESG_SG_NSC_INS5_IJiiEEESJ_Lb0EEESG_NS_23Merge_v2_magic_divisionISJ_EESM_NS_8RightPadIiiLb0EEESO_NS_7UnMergeISJ_Lb0EEESG_EEENS5_IJNS_8SequenceIJLi0EEEENSS_IJLi1EEEENSS_IJLi2EEEENSS_IJLi3EEEENSS_IJLi4EEEENSS_IJLi5EEEENSS_IJLi6EEEENSS_IJLi7ELi9EEEENSS_IJLi8ELi10EEEENSS_IJLi11EEEENSS_IJLi12EEEENSS_IJLi14EEEENSS_IJLi13EEEEEEENS5_IJNSS_IJLi1ELi2ELi3EEEESX_SY_SZ_NSS_IJLi7EEEENSS_IJLi8ELi9EEEENSS_IJLi10EEEES12_S13_S15_S14_NSS_IJLi15ELi16EEEENSS_IJLi17EEEEEEENSS_IJLi15ELi17ELi16EEEElEENSB_INS5_IJSQ_SO_SO_SQ_SG_EEENS5_IJST_SU_SV_SX_SW_EEENS5_IJNSS_IJLi1ELi2EEEESW_SX_NSS_IJLi5ELi6EEEES18_EEENSS_IJLi5ELi7ELi6EEEElEENSB_INS5_IJSK_SO_SO_EEENS5_IJST_SU_SV_EEENS5_IJS1I_SW_SX_EEENSS_IJLi3ELi4EEEElEELi128ELi128ELi16ELi2ELi4ELi4ELi1ENSS_IJLi8ELi2EEEES1S_NSS_IJLi8ELi1ELi1ELi2EEEENSS_IJLi2ELi1ELi128ELi1EEEENSS_IJLi1ELi2ELi0ELi3EEEES1V_NSS_IJLi4ELi1ELi1ELi2EEEES1V_NSS_IJLi1ELi1ELi1ELi2EEEES1T_S1U_S1V_S1V_S1W_S1V_S1X_NSS_IJLi0ELi1ELi2ELi3ELi4ELi5EEEELi5ELi4EEEDF16_NS5_IJPKDF16_EEEDF16_S8_S8_S9_NSB_INS5_IJSE_SG_SI_SG_SG_SK_SG_SM_SM_SO_SO_SQ_SG_SG_NSP_INS5_IJiNS_17integral_constantIiLi128EEEEEELb0EEENSF_INS23_IiLi2EEEEEEEENS5_IJST_SU_SV_SW_SX_SY_SZ_S10_S11_S12_S13_S14_S15_NSS_IJLi15EEEES1C_NSS_IJLi16EEEEEEENS5_IJS17_SX_SY_SZ_S18_S19_S1A_S12_S13_S15_S14_S1B_S1C_NSS_IJLi18EEEENSS_IJLi19ELi20EEEENSS_IJLi21EEEEEEENSS_IJLi18ELi19ELi20ELi21EEEElEENSB_INS5_IJSQ_SO_SO_SQ_SG_SG_S26_S28_EEENS5_IJST_SU_SV_SX_SW_SY_S18_SZ_EEENS5_IJS1I_SW_SX_S1J_S18_NSS_IJLi8EEEENSS_IJLi9ELi10EEEES12_EEENSS_IJLi8ELi9ELi10ELi11EEEElEENS5_IJNSB_INS5_IJSK_SO_SO_NSP_INS5_IJiS27_NS23_IiLi64EEEEEELb0EEES2S_EEENS5_IJST_SU_SV_SW_SX_EEENS5_IJS1I_SW_SX_NSS_IJLi5ELi6ELi7EEEENSS_IJLi8ELi9ELi10EEEEEEENSS_IJLi5ELi6ELi7ELi8ELi9ELi10EEEElEEEEES2Z_NS_31BlockToCTileMap_M00_N00_M01_N01ILi128ELi128ES1R_Lb0EEENS1_30ComputePtrOffsetOfStridedBatchILi1ELi1ELi1EvEELb1ELb1EEEvPKT0_S37_T1_PT2_T3_T4_T5_iT6_T7_T8_T9_T10_T11_.has_dyn_sized_stack, 0
	.set _ZN2ck16tensor_operation6device12_GLOBAL__N_137kernel_grouped_conv_fwd_dl_multiple_dINS_32GridwiseGemmDlMultipleD_km_kn_mnILi256EDF16_fNS_5TupleIJDF16_EEEDF16_NS0_12element_wise11PassThroughES8_NS7_7AddReluELNS_25InMemoryDataOperationEnumE0ENS_16TensorDescriptorINS5_IJNS_5EmbedINS5_IJiiiEEESD_Lb0EEENS_11PassThroughIiEENS_3PadIiiiLb0EEESG_SG_NSC_INS5_IJiiEEESJ_Lb0EEESG_NS_23Merge_v2_magic_divisionISJ_EESM_NS_8RightPadIiiLb0EEESO_NS_7UnMergeISJ_Lb0EEESG_EEENS5_IJNS_8SequenceIJLi0EEEENSS_IJLi1EEEENSS_IJLi2EEEENSS_IJLi3EEEENSS_IJLi4EEEENSS_IJLi5EEEENSS_IJLi6EEEENSS_IJLi7ELi9EEEENSS_IJLi8ELi10EEEENSS_IJLi11EEEENSS_IJLi12EEEENSS_IJLi14EEEENSS_IJLi13EEEEEEENS5_IJNSS_IJLi1ELi2ELi3EEEESX_SY_SZ_NSS_IJLi7EEEENSS_IJLi8ELi9EEEENSS_IJLi10EEEES12_S13_S15_S14_NSS_IJLi15ELi16EEEENSS_IJLi17EEEEEEENSS_IJLi15ELi17ELi16EEEElEENSB_INS5_IJSQ_SO_SO_SQ_SG_EEENS5_IJST_SU_SV_SX_SW_EEENS5_IJNSS_IJLi1ELi2EEEESW_SX_NSS_IJLi5ELi6EEEES18_EEENSS_IJLi5ELi7ELi6EEEElEENSB_INS5_IJSK_SO_SO_EEENS5_IJST_SU_SV_EEENS5_IJS1I_SW_SX_EEENSS_IJLi3ELi4EEEElEELi128ELi128ELi16ELi2ELi4ELi4ELi1ENSS_IJLi8ELi2EEEES1S_NSS_IJLi8ELi1ELi1ELi2EEEENSS_IJLi2ELi1ELi128ELi1EEEENSS_IJLi1ELi2ELi0ELi3EEEES1V_NSS_IJLi4ELi1ELi1ELi2EEEES1V_NSS_IJLi1ELi1ELi1ELi2EEEES1T_S1U_S1V_S1V_S1W_S1V_S1X_NSS_IJLi0ELi1ELi2ELi3ELi4ELi5EEEELi5ELi4EEEDF16_NS5_IJPKDF16_EEEDF16_S8_S8_S9_NSB_INS5_IJSE_SG_SI_SG_SG_SK_SG_SM_SM_SO_SO_SQ_SG_SG_NSP_INS5_IJiNS_17integral_constantIiLi128EEEEEELb0EEENSF_INS23_IiLi2EEEEEEEENS5_IJST_SU_SV_SW_SX_SY_SZ_S10_S11_S12_S13_S14_S15_NSS_IJLi15EEEES1C_NSS_IJLi16EEEEEEENS5_IJS17_SX_SY_SZ_S18_S19_S1A_S12_S13_S15_S14_S1B_S1C_NSS_IJLi18EEEENSS_IJLi19ELi20EEEENSS_IJLi21EEEEEEENSS_IJLi18ELi19ELi20ELi21EEEElEENSB_INS5_IJSQ_SO_SO_SQ_SG_SG_S26_S28_EEENS5_IJST_SU_SV_SX_SW_SY_S18_SZ_EEENS5_IJS1I_SW_SX_S1J_S18_NSS_IJLi8EEEENSS_IJLi9ELi10EEEES12_EEENSS_IJLi8ELi9ELi10ELi11EEEElEENS5_IJNSB_INS5_IJSK_SO_SO_NSP_INS5_IJiS27_NS23_IiLi64EEEEEELb0EEES2S_EEENS5_IJST_SU_SV_SW_SX_EEENS5_IJS1I_SW_SX_NSS_IJLi5ELi6ELi7EEEENSS_IJLi8ELi9ELi10EEEEEEENSS_IJLi5ELi6ELi7ELi8ELi9ELi10EEEElEEEEES2Z_NS_31BlockToCTileMap_M00_N00_M01_N01ILi128ELi128ES1R_Lb0EEENS1_30ComputePtrOffsetOfStridedBatchILi1ELi1ELi1EvEELb1ELb1EEEvPKT0_S37_T1_PT2_T3_T4_T5_iT6_T7_T8_T9_T10_T11_.has_recursion, 0
	.set _ZN2ck16tensor_operation6device12_GLOBAL__N_137kernel_grouped_conv_fwd_dl_multiple_dINS_32GridwiseGemmDlMultipleD_km_kn_mnILi256EDF16_fNS_5TupleIJDF16_EEEDF16_NS0_12element_wise11PassThroughES8_NS7_7AddReluELNS_25InMemoryDataOperationEnumE0ENS_16TensorDescriptorINS5_IJNS_5EmbedINS5_IJiiiEEESD_Lb0EEENS_11PassThroughIiEENS_3PadIiiiLb0EEESG_SG_NSC_INS5_IJiiEEESJ_Lb0EEESG_NS_23Merge_v2_magic_divisionISJ_EESM_NS_8RightPadIiiLb0EEESO_NS_7UnMergeISJ_Lb0EEESG_EEENS5_IJNS_8SequenceIJLi0EEEENSS_IJLi1EEEENSS_IJLi2EEEENSS_IJLi3EEEENSS_IJLi4EEEENSS_IJLi5EEEENSS_IJLi6EEEENSS_IJLi7ELi9EEEENSS_IJLi8ELi10EEEENSS_IJLi11EEEENSS_IJLi12EEEENSS_IJLi14EEEENSS_IJLi13EEEEEEENS5_IJNSS_IJLi1ELi2ELi3EEEESX_SY_SZ_NSS_IJLi7EEEENSS_IJLi8ELi9EEEENSS_IJLi10EEEES12_S13_S15_S14_NSS_IJLi15ELi16EEEENSS_IJLi17EEEEEEENSS_IJLi15ELi17ELi16EEEElEENSB_INS5_IJSQ_SO_SO_SQ_SG_EEENS5_IJST_SU_SV_SX_SW_EEENS5_IJNSS_IJLi1ELi2EEEESW_SX_NSS_IJLi5ELi6EEEES18_EEENSS_IJLi5ELi7ELi6EEEElEENSB_INS5_IJSK_SO_SO_EEENS5_IJST_SU_SV_EEENS5_IJS1I_SW_SX_EEENSS_IJLi3ELi4EEEElEELi128ELi128ELi16ELi2ELi4ELi4ELi1ENSS_IJLi8ELi2EEEES1S_NSS_IJLi8ELi1ELi1ELi2EEEENSS_IJLi2ELi1ELi128ELi1EEEENSS_IJLi1ELi2ELi0ELi3EEEES1V_NSS_IJLi4ELi1ELi1ELi2EEEES1V_NSS_IJLi1ELi1ELi1ELi2EEEES1T_S1U_S1V_S1V_S1W_S1V_S1X_NSS_IJLi0ELi1ELi2ELi3ELi4ELi5EEEELi5ELi4EEEDF16_NS5_IJPKDF16_EEEDF16_S8_S8_S9_NSB_INS5_IJSE_SG_SI_SG_SG_SK_SG_SM_SM_SO_SO_SQ_SG_SG_NSP_INS5_IJiNS_17integral_constantIiLi128EEEEEELb0EEENSF_INS23_IiLi2EEEEEEEENS5_IJST_SU_SV_SW_SX_SY_SZ_S10_S11_S12_S13_S14_S15_NSS_IJLi15EEEES1C_NSS_IJLi16EEEEEEENS5_IJS17_SX_SY_SZ_S18_S19_S1A_S12_S13_S15_S14_S1B_S1C_NSS_IJLi18EEEENSS_IJLi19ELi20EEEENSS_IJLi21EEEEEEENSS_IJLi18ELi19ELi20ELi21EEEElEENSB_INS5_IJSQ_SO_SO_SQ_SG_SG_S26_S28_EEENS5_IJST_SU_SV_SX_SW_SY_S18_SZ_EEENS5_IJS1I_SW_SX_S1J_S18_NSS_IJLi8EEEENSS_IJLi9ELi10EEEES12_EEENSS_IJLi8ELi9ELi10ELi11EEEElEENS5_IJNSB_INS5_IJSK_SO_SO_NSP_INS5_IJiS27_NS23_IiLi64EEEEEELb0EEES2S_EEENS5_IJST_SU_SV_SW_SX_EEENS5_IJS1I_SW_SX_NSS_IJLi5ELi6ELi7EEEENSS_IJLi8ELi9ELi10EEEEEEENSS_IJLi5ELi6ELi7ELi8ELi9ELi10EEEElEEEEES2Z_NS_31BlockToCTileMap_M00_N00_M01_N01ILi128ELi128ES1R_Lb0EEENS1_30ComputePtrOffsetOfStridedBatchILi1ELi1ELi1EvEELb1ELb1EEEvPKT0_S37_T1_PT2_T3_T4_T5_iT6_T7_T8_T9_T10_T11_.has_indirect_call, 0
	.section	.AMDGPU.csdata,"",@progbits
; Kernel info:
; codeLenInByte = 43016
; TotalNumSgprs: 68
; NumVgprs: 128
; ScratchSize: 168
; MemoryBound: 0
; FloatMode: 240
; IeeeMode: 1
; LDSByteSize: 32768 bytes/workgroup (compile time only)
; SGPRBlocks: 12
; VGPRBlocks: 31
; NumSGPRsForWavesPerEU: 102
; NumVGPRsForWavesPerEU: 128
; Occupancy: 2
; WaveLimiterHint : 0
; COMPUTE_PGM_RSRC2:SCRATCH_EN: 1
; COMPUTE_PGM_RSRC2:USER_SGPR: 6
; COMPUTE_PGM_RSRC2:TRAP_HANDLER: 0
; COMPUTE_PGM_RSRC2:TGID_X_EN: 1
; COMPUTE_PGM_RSRC2:TGID_Y_EN: 0
; COMPUTE_PGM_RSRC2:TGID_Z_EN: 0
; COMPUTE_PGM_RSRC2:TIDIG_COMP_CNT: 0
	.section	.text._ZN2ck16tensor_operation6device12_GLOBAL__N_137kernel_grouped_conv_fwd_dl_multiple_dINS_32GridwiseGemmDlMultipleD_km_kn_mnILi256EDF16_fNS_5TupleIJDF16_EEEDF16_NS0_12element_wise11PassThroughES8_NS7_7AddReluELNS_25InMemoryDataOperationEnumE0ENS_16TensorDescriptorINS5_IJNS_5EmbedINS5_IJiiiEEESD_Lb0EEENS_11PassThroughIiEENS_3PadIiiiLb0EEESG_SG_NSC_INS5_IJiiEEESJ_Lb0EEESG_NS_23Merge_v2_magic_divisionISJ_EESM_NS_8RightPadIiiLb0EEESO_NS_7UnMergeISJ_Lb0EEESG_EEENS5_IJNS_8SequenceIJLi0EEEENSS_IJLi1EEEENSS_IJLi2EEEENSS_IJLi3EEEENSS_IJLi4EEEENSS_IJLi5EEEENSS_IJLi6EEEENSS_IJLi7ELi9EEEENSS_IJLi8ELi10EEEENSS_IJLi11EEEENSS_IJLi12EEEENSS_IJLi14EEEENSS_IJLi13EEEEEEENS5_IJNSS_IJLi1ELi2ELi3EEEESX_SY_SZ_NSS_IJLi7EEEENSS_IJLi8ELi9EEEENSS_IJLi10EEEES12_S13_S15_S14_NSS_IJLi15ELi16EEEENSS_IJLi17EEEEEEENSS_IJLi15ELi17ELi16EEEElEENSB_INS5_IJSQ_SO_SO_SQ_SG_EEENS5_IJST_SU_SV_SX_SW_EEENS5_IJNSS_IJLi1ELi2EEEESW_SX_NSS_IJLi5ELi6EEEES18_EEENSS_IJLi5ELi7ELi6EEEElEENSB_INS5_IJSK_SO_SO_EEENS5_IJST_SU_SV_EEENS5_IJS1I_SW_SX_EEENSS_IJLi3ELi4EEEElEELi128ELi128ELi16ELi2ELi4ELi4ELi1ENSS_IJLi8ELi2EEEES1S_NSS_IJLi8ELi1ELi1ELi2EEEENSS_IJLi2ELi1ELi128ELi1EEEENSS_IJLi1ELi2ELi0ELi3EEEES1V_NSS_IJLi4ELi1ELi1ELi2EEEES1V_NSS_IJLi1ELi1ELi1ELi2EEEES1T_S1U_S1V_S1V_S1W_S1V_S1X_NSS_IJLi0ELi1ELi2ELi3ELi4ELi5EEEELi5ELi4EEEDF16_NS5_IJPKDF16_EEEDF16_S8_S8_S9_NSB_INS5_IJSE_SG_SI_SG_SG_SK_SG_SM_SM_SO_SO_SQ_SG_SG_NSP_INS5_IJiNS_17integral_constantIiLi128EEEEEELb0EEENSF_INS23_IiLi2EEEEEEEENS5_IJST_SU_SV_SW_SX_SY_SZ_S10_S11_S12_S13_S14_S15_NSS_IJLi15EEEES1C_NSS_IJLi16EEEEEEENS5_IJS17_SX_SY_SZ_S18_S19_S1A_S12_S13_S15_S14_S1B_S1C_NSS_IJLi18EEEENSS_IJLi19ELi20EEEENSS_IJLi21EEEEEEENSS_IJLi18ELi19ELi20ELi21EEEElEENSB_INS5_IJSQ_SO_SO_SQ_SG_SG_S26_S28_EEENS5_IJST_SU_SV_SX_SW_SY_S18_SZ_EEENS5_IJS1I_SW_SX_S1J_S18_NSS_IJLi8EEEENSS_IJLi9ELi10EEEES12_EEENSS_IJLi8ELi9ELi10ELi11EEEElEENS5_IJNSB_INS5_IJSK_SO_SO_NSP_INS5_IJiS27_NS23_IiLi64EEEEEELb0EEES2S_EEENS5_IJST_SU_SV_SW_SX_EEENS5_IJS1I_SW_SX_NSS_IJLi5ELi6ELi7EEEENSS_IJLi8ELi9ELi10EEEEEEENSS_IJLi5ELi6ELi7ELi8ELi9ELi10EEEElEEEEES2Z_NS_31BlockToCTileMap_M00_N00_M01_N01ILi128ELi128ES1R_Lb0EEENS1_30ComputePtrOffsetOfStridedBatchILi1ELi1ELi1EvEELb1ELb0EEEvPKT0_S37_T1_PT2_T3_T4_T5_iT6_T7_T8_T9_T10_T11_,"axG",@progbits,_ZN2ck16tensor_operation6device12_GLOBAL__N_137kernel_grouped_conv_fwd_dl_multiple_dINS_32GridwiseGemmDlMultipleD_km_kn_mnILi256EDF16_fNS_5TupleIJDF16_EEEDF16_NS0_12element_wise11PassThroughES8_NS7_7AddReluELNS_25InMemoryDataOperationEnumE0ENS_16TensorDescriptorINS5_IJNS_5EmbedINS5_IJiiiEEESD_Lb0EEENS_11PassThroughIiEENS_3PadIiiiLb0EEESG_SG_NSC_INS5_IJiiEEESJ_Lb0EEESG_NS_23Merge_v2_magic_divisionISJ_EESM_NS_8RightPadIiiLb0EEESO_NS_7UnMergeISJ_Lb0EEESG_EEENS5_IJNS_8SequenceIJLi0EEEENSS_IJLi1EEEENSS_IJLi2EEEENSS_IJLi3EEEENSS_IJLi4EEEENSS_IJLi5EEEENSS_IJLi6EEEENSS_IJLi7ELi9EEEENSS_IJLi8ELi10EEEENSS_IJLi11EEEENSS_IJLi12EEEENSS_IJLi14EEEENSS_IJLi13EEEEEEENS5_IJNSS_IJLi1ELi2ELi3EEEESX_SY_SZ_NSS_IJLi7EEEENSS_IJLi8ELi9EEEENSS_IJLi10EEEES12_S13_S15_S14_NSS_IJLi15ELi16EEEENSS_IJLi17EEEEEEENSS_IJLi15ELi17ELi16EEEElEENSB_INS5_IJSQ_SO_SO_SQ_SG_EEENS5_IJST_SU_SV_SX_SW_EEENS5_IJNSS_IJLi1ELi2EEEESW_SX_NSS_IJLi5ELi6EEEES18_EEENSS_IJLi5ELi7ELi6EEEElEENSB_INS5_IJSK_SO_SO_EEENS5_IJST_SU_SV_EEENS5_IJS1I_SW_SX_EEENSS_IJLi3ELi4EEEElEELi128ELi128ELi16ELi2ELi4ELi4ELi1ENSS_IJLi8ELi2EEEES1S_NSS_IJLi8ELi1ELi1ELi2EEEENSS_IJLi2ELi1ELi128ELi1EEEENSS_IJLi1ELi2ELi0ELi3EEEES1V_NSS_IJLi4ELi1ELi1ELi2EEEES1V_NSS_IJLi1ELi1ELi1ELi2EEEES1T_S1U_S1V_S1V_S1W_S1V_S1X_NSS_IJLi0ELi1ELi2ELi3ELi4ELi5EEEELi5ELi4EEEDF16_NS5_IJPKDF16_EEEDF16_S8_S8_S9_NSB_INS5_IJSE_SG_SI_SG_SG_SK_SG_SM_SM_SO_SO_SQ_SG_SG_NSP_INS5_IJiNS_17integral_constantIiLi128EEEEEELb0EEENSF_INS23_IiLi2EEEEEEEENS5_IJST_SU_SV_SW_SX_SY_SZ_S10_S11_S12_S13_S14_S15_NSS_IJLi15EEEES1C_NSS_IJLi16EEEEEEENS5_IJS17_SX_SY_SZ_S18_S19_S1A_S12_S13_S15_S14_S1B_S1C_NSS_IJLi18EEEENSS_IJLi19ELi20EEEENSS_IJLi21EEEEEEENSS_IJLi18ELi19ELi20ELi21EEEElEENSB_INS5_IJSQ_SO_SO_SQ_SG_SG_S26_S28_EEENS5_IJST_SU_SV_SX_SW_SY_S18_SZ_EEENS5_IJS1I_SW_SX_S1J_S18_NSS_IJLi8EEEENSS_IJLi9ELi10EEEES12_EEENSS_IJLi8ELi9ELi10ELi11EEEElEENS5_IJNSB_INS5_IJSK_SO_SO_NSP_INS5_IJiS27_NS23_IiLi64EEEEEELb0EEES2S_EEENS5_IJST_SU_SV_SW_SX_EEENS5_IJS1I_SW_SX_NSS_IJLi5ELi6ELi7EEEENSS_IJLi8ELi9ELi10EEEEEEENSS_IJLi5ELi6ELi7ELi8ELi9ELi10EEEElEEEEES2Z_NS_31BlockToCTileMap_M00_N00_M01_N01ILi128ELi128ES1R_Lb0EEENS1_30ComputePtrOffsetOfStridedBatchILi1ELi1ELi1EvEELb1ELb0EEEvPKT0_S37_T1_PT2_T3_T4_T5_iT6_T7_T8_T9_T10_T11_,comdat
	.globl	_ZN2ck16tensor_operation6device12_GLOBAL__N_137kernel_grouped_conv_fwd_dl_multiple_dINS_32GridwiseGemmDlMultipleD_km_kn_mnILi256EDF16_fNS_5TupleIJDF16_EEEDF16_NS0_12element_wise11PassThroughES8_NS7_7AddReluELNS_25InMemoryDataOperationEnumE0ENS_16TensorDescriptorINS5_IJNS_5EmbedINS5_IJiiiEEESD_Lb0EEENS_11PassThroughIiEENS_3PadIiiiLb0EEESG_SG_NSC_INS5_IJiiEEESJ_Lb0EEESG_NS_23Merge_v2_magic_divisionISJ_EESM_NS_8RightPadIiiLb0EEESO_NS_7UnMergeISJ_Lb0EEESG_EEENS5_IJNS_8SequenceIJLi0EEEENSS_IJLi1EEEENSS_IJLi2EEEENSS_IJLi3EEEENSS_IJLi4EEEENSS_IJLi5EEEENSS_IJLi6EEEENSS_IJLi7ELi9EEEENSS_IJLi8ELi10EEEENSS_IJLi11EEEENSS_IJLi12EEEENSS_IJLi14EEEENSS_IJLi13EEEEEEENS5_IJNSS_IJLi1ELi2ELi3EEEESX_SY_SZ_NSS_IJLi7EEEENSS_IJLi8ELi9EEEENSS_IJLi10EEEES12_S13_S15_S14_NSS_IJLi15ELi16EEEENSS_IJLi17EEEEEEENSS_IJLi15ELi17ELi16EEEElEENSB_INS5_IJSQ_SO_SO_SQ_SG_EEENS5_IJST_SU_SV_SX_SW_EEENS5_IJNSS_IJLi1ELi2EEEESW_SX_NSS_IJLi5ELi6EEEES18_EEENSS_IJLi5ELi7ELi6EEEElEENSB_INS5_IJSK_SO_SO_EEENS5_IJST_SU_SV_EEENS5_IJS1I_SW_SX_EEENSS_IJLi3ELi4EEEElEELi128ELi128ELi16ELi2ELi4ELi4ELi1ENSS_IJLi8ELi2EEEES1S_NSS_IJLi8ELi1ELi1ELi2EEEENSS_IJLi2ELi1ELi128ELi1EEEENSS_IJLi1ELi2ELi0ELi3EEEES1V_NSS_IJLi4ELi1ELi1ELi2EEEES1V_NSS_IJLi1ELi1ELi1ELi2EEEES1T_S1U_S1V_S1V_S1W_S1V_S1X_NSS_IJLi0ELi1ELi2ELi3ELi4ELi5EEEELi5ELi4EEEDF16_NS5_IJPKDF16_EEEDF16_S8_S8_S9_NSB_INS5_IJSE_SG_SI_SG_SG_SK_SG_SM_SM_SO_SO_SQ_SG_SG_NSP_INS5_IJiNS_17integral_constantIiLi128EEEEEELb0EEENSF_INS23_IiLi2EEEEEEEENS5_IJST_SU_SV_SW_SX_SY_SZ_S10_S11_S12_S13_S14_S15_NSS_IJLi15EEEES1C_NSS_IJLi16EEEEEEENS5_IJS17_SX_SY_SZ_S18_S19_S1A_S12_S13_S15_S14_S1B_S1C_NSS_IJLi18EEEENSS_IJLi19ELi20EEEENSS_IJLi21EEEEEEENSS_IJLi18ELi19ELi20ELi21EEEElEENSB_INS5_IJSQ_SO_SO_SQ_SG_SG_S26_S28_EEENS5_IJST_SU_SV_SX_SW_SY_S18_SZ_EEENS5_IJS1I_SW_SX_S1J_S18_NSS_IJLi8EEEENSS_IJLi9ELi10EEEES12_EEENSS_IJLi8ELi9ELi10ELi11EEEElEENS5_IJNSB_INS5_IJSK_SO_SO_NSP_INS5_IJiS27_NS23_IiLi64EEEEEELb0EEES2S_EEENS5_IJST_SU_SV_SW_SX_EEENS5_IJS1I_SW_SX_NSS_IJLi5ELi6ELi7EEEENSS_IJLi8ELi9ELi10EEEEEEENSS_IJLi5ELi6ELi7ELi8ELi9ELi10EEEElEEEEES2Z_NS_31BlockToCTileMap_M00_N00_M01_N01ILi128ELi128ES1R_Lb0EEENS1_30ComputePtrOffsetOfStridedBatchILi1ELi1ELi1EvEELb1ELb0EEEvPKT0_S37_T1_PT2_T3_T4_T5_iT6_T7_T8_T9_T10_T11_ ; -- Begin function _ZN2ck16tensor_operation6device12_GLOBAL__N_137kernel_grouped_conv_fwd_dl_multiple_dINS_32GridwiseGemmDlMultipleD_km_kn_mnILi256EDF16_fNS_5TupleIJDF16_EEEDF16_NS0_12element_wise11PassThroughES8_NS7_7AddReluELNS_25InMemoryDataOperationEnumE0ENS_16TensorDescriptorINS5_IJNS_5EmbedINS5_IJiiiEEESD_Lb0EEENS_11PassThroughIiEENS_3PadIiiiLb0EEESG_SG_NSC_INS5_IJiiEEESJ_Lb0EEESG_NS_23Merge_v2_magic_divisionISJ_EESM_NS_8RightPadIiiLb0EEESO_NS_7UnMergeISJ_Lb0EEESG_EEENS5_IJNS_8SequenceIJLi0EEEENSS_IJLi1EEEENSS_IJLi2EEEENSS_IJLi3EEEENSS_IJLi4EEEENSS_IJLi5EEEENSS_IJLi6EEEENSS_IJLi7ELi9EEEENSS_IJLi8ELi10EEEENSS_IJLi11EEEENSS_IJLi12EEEENSS_IJLi14EEEENSS_IJLi13EEEEEEENS5_IJNSS_IJLi1ELi2ELi3EEEESX_SY_SZ_NSS_IJLi7EEEENSS_IJLi8ELi9EEEENSS_IJLi10EEEES12_S13_S15_S14_NSS_IJLi15ELi16EEEENSS_IJLi17EEEEEEENSS_IJLi15ELi17ELi16EEEElEENSB_INS5_IJSQ_SO_SO_SQ_SG_EEENS5_IJST_SU_SV_SX_SW_EEENS5_IJNSS_IJLi1ELi2EEEESW_SX_NSS_IJLi5ELi6EEEES18_EEENSS_IJLi5ELi7ELi6EEEElEENSB_INS5_IJSK_SO_SO_EEENS5_IJST_SU_SV_EEENS5_IJS1I_SW_SX_EEENSS_IJLi3ELi4EEEElEELi128ELi128ELi16ELi2ELi4ELi4ELi1ENSS_IJLi8ELi2EEEES1S_NSS_IJLi8ELi1ELi1ELi2EEEENSS_IJLi2ELi1ELi128ELi1EEEENSS_IJLi1ELi2ELi0ELi3EEEES1V_NSS_IJLi4ELi1ELi1ELi2EEEES1V_NSS_IJLi1ELi1ELi1ELi2EEEES1T_S1U_S1V_S1V_S1W_S1V_S1X_NSS_IJLi0ELi1ELi2ELi3ELi4ELi5EEEELi5ELi4EEEDF16_NS5_IJPKDF16_EEEDF16_S8_S8_S9_NSB_INS5_IJSE_SG_SI_SG_SG_SK_SG_SM_SM_SO_SO_SQ_SG_SG_NSP_INS5_IJiNS_17integral_constantIiLi128EEEEEELb0EEENSF_INS23_IiLi2EEEEEEEENS5_IJST_SU_SV_SW_SX_SY_SZ_S10_S11_S12_S13_S14_S15_NSS_IJLi15EEEES1C_NSS_IJLi16EEEEEEENS5_IJS17_SX_SY_SZ_S18_S19_S1A_S12_S13_S15_S14_S1B_S1C_NSS_IJLi18EEEENSS_IJLi19ELi20EEEENSS_IJLi21EEEEEEENSS_IJLi18ELi19ELi20ELi21EEEElEENSB_INS5_IJSQ_SO_SO_SQ_SG_SG_S26_S28_EEENS5_IJST_SU_SV_SX_SW_SY_S18_SZ_EEENS5_IJS1I_SW_SX_S1J_S18_NSS_IJLi8EEEENSS_IJLi9ELi10EEEES12_EEENSS_IJLi8ELi9ELi10ELi11EEEElEENS5_IJNSB_INS5_IJSK_SO_SO_NSP_INS5_IJiS27_NS23_IiLi64EEEEEELb0EEES2S_EEENS5_IJST_SU_SV_SW_SX_EEENS5_IJS1I_SW_SX_NSS_IJLi5ELi6ELi7EEEENSS_IJLi8ELi9ELi10EEEEEEENSS_IJLi5ELi6ELi7ELi8ELi9ELi10EEEElEEEEES2Z_NS_31BlockToCTileMap_M00_N00_M01_N01ILi128ELi128ES1R_Lb0EEENS1_30ComputePtrOffsetOfStridedBatchILi1ELi1ELi1EvEELb1ELb0EEEvPKT0_S37_T1_PT2_T3_T4_T5_iT6_T7_T8_T9_T10_T11_
	.p2align	8
	.type	_ZN2ck16tensor_operation6device12_GLOBAL__N_137kernel_grouped_conv_fwd_dl_multiple_dINS_32GridwiseGemmDlMultipleD_km_kn_mnILi256EDF16_fNS_5TupleIJDF16_EEEDF16_NS0_12element_wise11PassThroughES8_NS7_7AddReluELNS_25InMemoryDataOperationEnumE0ENS_16TensorDescriptorINS5_IJNS_5EmbedINS5_IJiiiEEESD_Lb0EEENS_11PassThroughIiEENS_3PadIiiiLb0EEESG_SG_NSC_INS5_IJiiEEESJ_Lb0EEESG_NS_23Merge_v2_magic_divisionISJ_EESM_NS_8RightPadIiiLb0EEESO_NS_7UnMergeISJ_Lb0EEESG_EEENS5_IJNS_8SequenceIJLi0EEEENSS_IJLi1EEEENSS_IJLi2EEEENSS_IJLi3EEEENSS_IJLi4EEEENSS_IJLi5EEEENSS_IJLi6EEEENSS_IJLi7ELi9EEEENSS_IJLi8ELi10EEEENSS_IJLi11EEEENSS_IJLi12EEEENSS_IJLi14EEEENSS_IJLi13EEEEEEENS5_IJNSS_IJLi1ELi2ELi3EEEESX_SY_SZ_NSS_IJLi7EEEENSS_IJLi8ELi9EEEENSS_IJLi10EEEES12_S13_S15_S14_NSS_IJLi15ELi16EEEENSS_IJLi17EEEEEEENSS_IJLi15ELi17ELi16EEEElEENSB_INS5_IJSQ_SO_SO_SQ_SG_EEENS5_IJST_SU_SV_SX_SW_EEENS5_IJNSS_IJLi1ELi2EEEESW_SX_NSS_IJLi5ELi6EEEES18_EEENSS_IJLi5ELi7ELi6EEEElEENSB_INS5_IJSK_SO_SO_EEENS5_IJST_SU_SV_EEENS5_IJS1I_SW_SX_EEENSS_IJLi3ELi4EEEElEELi128ELi128ELi16ELi2ELi4ELi4ELi1ENSS_IJLi8ELi2EEEES1S_NSS_IJLi8ELi1ELi1ELi2EEEENSS_IJLi2ELi1ELi128ELi1EEEENSS_IJLi1ELi2ELi0ELi3EEEES1V_NSS_IJLi4ELi1ELi1ELi2EEEES1V_NSS_IJLi1ELi1ELi1ELi2EEEES1T_S1U_S1V_S1V_S1W_S1V_S1X_NSS_IJLi0ELi1ELi2ELi3ELi4ELi5EEEELi5ELi4EEEDF16_NS5_IJPKDF16_EEEDF16_S8_S8_S9_NSB_INS5_IJSE_SG_SI_SG_SG_SK_SG_SM_SM_SO_SO_SQ_SG_SG_NSP_INS5_IJiNS_17integral_constantIiLi128EEEEEELb0EEENSF_INS23_IiLi2EEEEEEEENS5_IJST_SU_SV_SW_SX_SY_SZ_S10_S11_S12_S13_S14_S15_NSS_IJLi15EEEES1C_NSS_IJLi16EEEEEEENS5_IJS17_SX_SY_SZ_S18_S19_S1A_S12_S13_S15_S14_S1B_S1C_NSS_IJLi18EEEENSS_IJLi19ELi20EEEENSS_IJLi21EEEEEEENSS_IJLi18ELi19ELi20ELi21EEEElEENSB_INS5_IJSQ_SO_SO_SQ_SG_SG_S26_S28_EEENS5_IJST_SU_SV_SX_SW_SY_S18_SZ_EEENS5_IJS1I_SW_SX_S1J_S18_NSS_IJLi8EEEENSS_IJLi9ELi10EEEES12_EEENSS_IJLi8ELi9ELi10ELi11EEEElEENS5_IJNSB_INS5_IJSK_SO_SO_NSP_INS5_IJiS27_NS23_IiLi64EEEEEELb0EEES2S_EEENS5_IJST_SU_SV_SW_SX_EEENS5_IJS1I_SW_SX_NSS_IJLi5ELi6ELi7EEEENSS_IJLi8ELi9ELi10EEEEEEENSS_IJLi5ELi6ELi7ELi8ELi9ELi10EEEElEEEEES2Z_NS_31BlockToCTileMap_M00_N00_M01_N01ILi128ELi128ES1R_Lb0EEENS1_30ComputePtrOffsetOfStridedBatchILi1ELi1ELi1EvEELb1ELb0EEEvPKT0_S37_T1_PT2_T3_T4_T5_iT6_T7_T8_T9_T10_T11_,@function
_ZN2ck16tensor_operation6device12_GLOBAL__N_137kernel_grouped_conv_fwd_dl_multiple_dINS_32GridwiseGemmDlMultipleD_km_kn_mnILi256EDF16_fNS_5TupleIJDF16_EEEDF16_NS0_12element_wise11PassThroughES8_NS7_7AddReluELNS_25InMemoryDataOperationEnumE0ENS_16TensorDescriptorINS5_IJNS_5EmbedINS5_IJiiiEEESD_Lb0EEENS_11PassThroughIiEENS_3PadIiiiLb0EEESG_SG_NSC_INS5_IJiiEEESJ_Lb0EEESG_NS_23Merge_v2_magic_divisionISJ_EESM_NS_8RightPadIiiLb0EEESO_NS_7UnMergeISJ_Lb0EEESG_EEENS5_IJNS_8SequenceIJLi0EEEENSS_IJLi1EEEENSS_IJLi2EEEENSS_IJLi3EEEENSS_IJLi4EEEENSS_IJLi5EEEENSS_IJLi6EEEENSS_IJLi7ELi9EEEENSS_IJLi8ELi10EEEENSS_IJLi11EEEENSS_IJLi12EEEENSS_IJLi14EEEENSS_IJLi13EEEEEEENS5_IJNSS_IJLi1ELi2ELi3EEEESX_SY_SZ_NSS_IJLi7EEEENSS_IJLi8ELi9EEEENSS_IJLi10EEEES12_S13_S15_S14_NSS_IJLi15ELi16EEEENSS_IJLi17EEEEEEENSS_IJLi15ELi17ELi16EEEElEENSB_INS5_IJSQ_SO_SO_SQ_SG_EEENS5_IJST_SU_SV_SX_SW_EEENS5_IJNSS_IJLi1ELi2EEEESW_SX_NSS_IJLi5ELi6EEEES18_EEENSS_IJLi5ELi7ELi6EEEElEENSB_INS5_IJSK_SO_SO_EEENS5_IJST_SU_SV_EEENS5_IJS1I_SW_SX_EEENSS_IJLi3ELi4EEEElEELi128ELi128ELi16ELi2ELi4ELi4ELi1ENSS_IJLi8ELi2EEEES1S_NSS_IJLi8ELi1ELi1ELi2EEEENSS_IJLi2ELi1ELi128ELi1EEEENSS_IJLi1ELi2ELi0ELi3EEEES1V_NSS_IJLi4ELi1ELi1ELi2EEEES1V_NSS_IJLi1ELi1ELi1ELi2EEEES1T_S1U_S1V_S1V_S1W_S1V_S1X_NSS_IJLi0ELi1ELi2ELi3ELi4ELi5EEEELi5ELi4EEEDF16_NS5_IJPKDF16_EEEDF16_S8_S8_S9_NSB_INS5_IJSE_SG_SI_SG_SG_SK_SG_SM_SM_SO_SO_SQ_SG_SG_NSP_INS5_IJiNS_17integral_constantIiLi128EEEEEELb0EEENSF_INS23_IiLi2EEEEEEEENS5_IJST_SU_SV_SW_SX_SY_SZ_S10_S11_S12_S13_S14_S15_NSS_IJLi15EEEES1C_NSS_IJLi16EEEEEEENS5_IJS17_SX_SY_SZ_S18_S19_S1A_S12_S13_S15_S14_S1B_S1C_NSS_IJLi18EEEENSS_IJLi19ELi20EEEENSS_IJLi21EEEEEEENSS_IJLi18ELi19ELi20ELi21EEEElEENSB_INS5_IJSQ_SO_SO_SQ_SG_SG_S26_S28_EEENS5_IJST_SU_SV_SX_SW_SY_S18_SZ_EEENS5_IJS1I_SW_SX_S1J_S18_NSS_IJLi8EEEENSS_IJLi9ELi10EEEES12_EEENSS_IJLi8ELi9ELi10ELi11EEEElEENS5_IJNSB_INS5_IJSK_SO_SO_NSP_INS5_IJiS27_NS23_IiLi64EEEEEELb0EEES2S_EEENS5_IJST_SU_SV_SW_SX_EEENS5_IJS1I_SW_SX_NSS_IJLi5ELi6ELi7EEEENSS_IJLi8ELi9ELi10EEEEEEENSS_IJLi5ELi6ELi7ELi8ELi9ELi10EEEElEEEEES2Z_NS_31BlockToCTileMap_M00_N00_M01_N01ILi128ELi128ES1R_Lb0EEENS1_30ComputePtrOffsetOfStridedBatchILi1ELi1ELi1EvEELb1ELb0EEEvPKT0_S37_T1_PT2_T3_T4_T5_iT6_T7_T8_T9_T10_T11_: ; @_ZN2ck16tensor_operation6device12_GLOBAL__N_137kernel_grouped_conv_fwd_dl_multiple_dINS_32GridwiseGemmDlMultipleD_km_kn_mnILi256EDF16_fNS_5TupleIJDF16_EEEDF16_NS0_12element_wise11PassThroughES8_NS7_7AddReluELNS_25InMemoryDataOperationEnumE0ENS_16TensorDescriptorINS5_IJNS_5EmbedINS5_IJiiiEEESD_Lb0EEENS_11PassThroughIiEENS_3PadIiiiLb0EEESG_SG_NSC_INS5_IJiiEEESJ_Lb0EEESG_NS_23Merge_v2_magic_divisionISJ_EESM_NS_8RightPadIiiLb0EEESO_NS_7UnMergeISJ_Lb0EEESG_EEENS5_IJNS_8SequenceIJLi0EEEENSS_IJLi1EEEENSS_IJLi2EEEENSS_IJLi3EEEENSS_IJLi4EEEENSS_IJLi5EEEENSS_IJLi6EEEENSS_IJLi7ELi9EEEENSS_IJLi8ELi10EEEENSS_IJLi11EEEENSS_IJLi12EEEENSS_IJLi14EEEENSS_IJLi13EEEEEEENS5_IJNSS_IJLi1ELi2ELi3EEEESX_SY_SZ_NSS_IJLi7EEEENSS_IJLi8ELi9EEEENSS_IJLi10EEEES12_S13_S15_S14_NSS_IJLi15ELi16EEEENSS_IJLi17EEEEEEENSS_IJLi15ELi17ELi16EEEElEENSB_INS5_IJSQ_SO_SO_SQ_SG_EEENS5_IJST_SU_SV_SX_SW_EEENS5_IJNSS_IJLi1ELi2EEEESW_SX_NSS_IJLi5ELi6EEEES18_EEENSS_IJLi5ELi7ELi6EEEElEENSB_INS5_IJSK_SO_SO_EEENS5_IJST_SU_SV_EEENS5_IJS1I_SW_SX_EEENSS_IJLi3ELi4EEEElEELi128ELi128ELi16ELi2ELi4ELi4ELi1ENSS_IJLi8ELi2EEEES1S_NSS_IJLi8ELi1ELi1ELi2EEEENSS_IJLi2ELi1ELi128ELi1EEEENSS_IJLi1ELi2ELi0ELi3EEEES1V_NSS_IJLi4ELi1ELi1ELi2EEEES1V_NSS_IJLi1ELi1ELi1ELi2EEEES1T_S1U_S1V_S1V_S1W_S1V_S1X_NSS_IJLi0ELi1ELi2ELi3ELi4ELi5EEEELi5ELi4EEEDF16_NS5_IJPKDF16_EEEDF16_S8_S8_S9_NSB_INS5_IJSE_SG_SI_SG_SG_SK_SG_SM_SM_SO_SO_SQ_SG_SG_NSP_INS5_IJiNS_17integral_constantIiLi128EEEEEELb0EEENSF_INS23_IiLi2EEEEEEEENS5_IJST_SU_SV_SW_SX_SY_SZ_S10_S11_S12_S13_S14_S15_NSS_IJLi15EEEES1C_NSS_IJLi16EEEEEEENS5_IJS17_SX_SY_SZ_S18_S19_S1A_S12_S13_S15_S14_S1B_S1C_NSS_IJLi18EEEENSS_IJLi19ELi20EEEENSS_IJLi21EEEEEEENSS_IJLi18ELi19ELi20ELi21EEEElEENSB_INS5_IJSQ_SO_SO_SQ_SG_SG_S26_S28_EEENS5_IJST_SU_SV_SX_SW_SY_S18_SZ_EEENS5_IJS1I_SW_SX_S1J_S18_NSS_IJLi8EEEENSS_IJLi9ELi10EEEES12_EEENSS_IJLi8ELi9ELi10ELi11EEEElEENS5_IJNSB_INS5_IJSK_SO_SO_NSP_INS5_IJiS27_NS23_IiLi64EEEEEELb0EEES2S_EEENS5_IJST_SU_SV_SW_SX_EEENS5_IJS1I_SW_SX_NSS_IJLi5ELi6ELi7EEEENSS_IJLi8ELi9ELi10EEEEEEENSS_IJLi5ELi6ELi7ELi8ELi9ELi10EEEElEEEEES2Z_NS_31BlockToCTileMap_M00_N00_M01_N01ILi128ELi128ES1R_Lb0EEENS1_30ComputePtrOffsetOfStridedBatchILi1ELi1ELi1EvEELb1ELb0EEEvPKT0_S37_T1_PT2_T3_T4_T5_iT6_T7_T8_T9_T10_T11_
; %bb.0:
	s_mov_b64 s[62:63], s[2:3]
	s_mov_b64 s[60:61], s[0:1]
	s_load_dword s8, s[4:5], 0x24
	s_load_dwordx4 s[0:3], s[4:5], 0x0
	s_load_dwordx2 s[44:45], s[4:5], 0x18
	s_load_dwordx8 s[12:19], s[4:5], 0x34
	s_add_u32 s60, s60, s7
	s_addc_u32 s61, s61, 0
	s_waitcnt lgkmcnt(0)
	s_abs_i32 s9, s8
	v_cvt_f32_u32_e32 v1, s9
	s_load_dword s48, s[4:5], 0x48
	s_load_dwordx2 s[46:47], s[4:5], 0x60
	s_load_dword s17, s[4:5], 0x70
	s_load_dword s19, s[4:5], 0x78
	s_load_dword s29, s[4:5], 0x80
	s_load_dword s49, s[4:5], 0x8c
	s_load_dword s50, s[4:5], 0x94
	s_load_dword s51, s[4:5], 0x9c
	s_load_dword s10, s[4:5], 0x288
	s_sub_i32 s11, 0, s9
	s_load_dword s55, s[4:5], 0xc4
	s_load_dword s56, s[4:5], 0xd0
	;; [unrolled: 1-line block ×6, first 2 shown]
	v_rcp_iflag_f32_e32 v1, v1
	v_lshrrev_b32_e32 v27, 1, v0
	s_waitcnt lgkmcnt(0)
	s_xor_b32 s8, s10, s8
	s_abs_i32 s10, s10
	v_mul_f32_e32 v1, 0x4f7ffffe, v1
	v_cvt_u32_f32_e32 v1, v1
	s_ashr_i32 s8, s8, 31
	v_mov_b32_e32 v47, 0
	v_mov_b32_e32 v46, 0
	v_readfirstlane_b32 s15, v1
	s_mul_i32 s11, s11, s15
	s_mul_hi_u32 s11, s15, s11
	s_add_i32 s15, s15, s11
	s_mul_hi_u32 s11, s10, s15
	s_mul_i32 s15, s11, s9
	s_sub_i32 s10, s10, s15
	s_add_i32 s15, s11, 1
	s_sub_i32 s20, s10, s9
	s_cmp_ge_u32 s10, s9
	s_cselect_b32 s11, s15, s11
	s_cselect_b32 s10, s20, s10
	s_add_i32 s15, s11, 1
	s_cmp_ge_u32 s10, s9
	s_cselect_b32 s9, s15, s11
	s_xor_b32 s9, s9, s8
	s_sub_i32 s15, s9, s8
	s_abs_i32 s28, s15
	v_cvt_f32_u32_e32 v1, s28
	s_sub_i32 s53, 0, s28
	s_abs_i32 s35, s6
	s_xor_b32 s15, s6, s15
	v_rcp_iflag_f32_e32 v1, v1
	s_ashr_i32 s15, s15, 31
	s_load_dword s33, s[4:5], 0x204
	s_load_dword s34, s[4:5], 0x214
	s_load_dwordx4 s[8:11], s[4:5], 0x220
	s_load_dwordx4 s[40:43], s[4:5], 0x234
	;; [unrolled: 1-line block ×3, first 2 shown]
	s_load_dwordx8 s[20:27], s[4:5], 0x260
	v_mul_f32_e32 v1, 0x4f7ffffe, v1
	v_cvt_u32_f32_e32 v1, v1
	v_mov_b32_e32 v52, 0
	v_mov_b32_e32 v54, 0
	;; [unrolled: 1-line block ×3, first 2 shown]
	v_readfirstlane_b32 s54, v1
	s_mul_i32 s53, s53, s54
	s_mul_hi_u32 s53, s54, s53
	s_add_i32 s54, s54, s53
	s_mul_hi_u32 s53, s35, s54
	s_mul_i32 s54, s53, s28
	s_sub_i32 s35, s35, s54
	s_add_i32 s54, s53, 1
	s_sub_i32 s57, s35, s28
	s_cmp_ge_u32 s35, s28
	s_cselect_b32 s53, s54, s53
	s_cselect_b32 s35, s57, s35
	s_add_i32 s54, s53, 1
	s_cmp_ge_u32 s35, s28
	s_cselect_b32 s28, s54, s53
	s_xor_b32 s28, s28, s15
	s_sub_i32 s53, s28, s15
	s_ashr_i32 s54, s53, 31
	s_waitcnt lgkmcnt(0)
	s_mul_i32 s15, s20, s54
	s_mul_hi_u32 s28, s20, s53
	s_add_i32 s15, s28, s15
	s_mul_i32 s21, s21, s53
	s_add_i32 s21, s15, s21
	s_mul_i32 s15, s22, s54
	s_mul_hi_u32 s28, s22, s53
	s_mul_i32 s20, s20, s53
	s_add_i32 s15, s28, s15
	s_mul_i32 s23, s23, s53
	s_add_i32 s23, s15, s23
	s_lshl_b64 s[20:21], s[20:21], 1
	s_mul_i32 s22, s22, s53
	s_add_u32 s20, s0, s20
	s_addc_u32 s21, s1, s21
	s_lshl_b64 s[0:1], s[22:23], 1
	s_add_u32 s28, s2, s0
	s_mul_hi_u32 s0, s43, s6
	s_addc_u32 s2, s3, s1
	s_add_i32 s0, s6, s0
	s_lshr_b32 s3, s0, s39
	s_mul_hi_u32 s0, s3, s42
	s_add_i32 s0, s3, s0
	s_lshr_b32 s22, s0, s38
	s_mul_i32 s0, s22, s10
	s_sub_i32 s15, s3, s0
	s_mul_hi_u32 s0, s22, s41
	s_add_i32 s0, s22, s0
	s_lshr_b32 s10, s0, s37
	s_mul_hi_u32 s0, s10, s40
	s_add_i32 s0, s10, s0
	s_lshr_b32 s0, s0, s36
	s_mul_i32 s0, s0, s8
	v_lshlrev_b32_e32 v1, 3, v0
	s_sub_i32 s0, s10, s0
	v_and_b32_e32 v23, 8, v1
	s_mul_i32 s0, s0, s33
	v_mul_lo_u32 v24, s55, v23
	s_add_i32 s15, s15, s0
	v_lshl_or_b32 v28, s15, 7, v27
	v_mul_hi_u32 v2, v28, s19
	v_mul_hi_u32 v1, v24, s50
	s_lshl_b32 s58, s55, 2
	v_add_u32_e32 v26, s58, v24
	v_add_u32_e32 v2, v28, v2
	;; [unrolled: 1-line block ×3, first 2 shown]
	v_lshrrev_b32_e32 v2, s29, v2
	v_mul_lo_u32 v3, v2, s17
	v_lshrrev_b32_e32 v11, s51, v1
	v_mul_lo_u32 v1, v11, s46
	v_mul_lo_u32 v6, v11, s49
	v_sub_u32_e32 v3, v28, v3
	s_mul_i32 s10, s10, s9
	v_mad_u64_u32 v[4:5], s[0:1], v3, s47, v[1:2]
	v_sub_u32_e32 v3, v24, v6
	v_mul_lo_u32 v2, v2, s12
	v_subrev_u32_e32 v1, s48, v4
	v_mul_lo_u32 v1, v1, s13
	v_mul_lo_u32 v5, v3, s14
	s_sub_i32 s0, s22, s10
	s_lshl_b32 s22, s31, 1
	s_and_b32 s21, s21, 0xffff
	v_add3_u32 v2, v2, v5, v1
	v_mul_hi_u32 v1, v26, s50
	s_mov_b32 s23, 0x20000
	v_lshlrev_b32_e32 v5, 1, v2
	s_load_dword s57, s[4:5], 0x120
	s_load_dword s8, s[4:5], 0x148
	s_load_dwordx2 s[38:39], s[4:5], 0x158
	s_load_dword s19, s[4:5], 0x164
	s_load_dword s42, s[4:5], 0x170
	v_add_u32_e32 v1, v26, v1
	v_lshrrev_b32_e32 v31, s51, v1
	buffer_load_dwordx4 v[7:10], v5, s[20:23], 0 offen
	v_mul_lo_u32 v5, v31, s49
	v_sub_u32_e32 v11, v31, v11
	v_mul_lo_u32 v29, v11, s46
	s_mul_i32 s3, s3, s11
	v_sub_u32_e32 v32, v26, v5
	s_sub_i32 s43, s6, s3
	s_mul_i32 s0, s0, s34
	v_sub_u32_e32 v3, v32, v3
	s_add_i32 s43, s43, s0
	v_mul_lo_u32 v5, v29, s13
	v_mul_lo_u32 v3, v3, s14
	v_lshl_or_b32 v30, s43, 7, v27
	s_waitcnt lgkmcnt(0)
	v_mul_lo_u32 v25, s57, v23
	v_mul_lo_u32 v6, v30, s7
	v_add3_u32 v34, v3, v5, v2
	v_lshlrev_b32_e32 v2, 1, v34
	buffer_load_dwordx4 v[11:14], v2, s[20:23], 0 offen
	v_add_u32_e32 v2, v6, v25
	s_and_b32 s29, s2, 0xffff
	s_lshl_b32 s10, s8, 1
	s_mov_b32 s8, s28
	s_mov_b32 s9, s29
	;; [unrolled: 1-line block ×3, first 2 shown]
	v_lshlrev_b32_e32 v3, 1, v2
	buffer_load_dwordx4 v[15:18], v3, s[8:11], 0 offen
	s_lshl_b32 s47, s57, 2
	v_add_lshl_u32 v2, v2, s47, 1
	buffer_load_dwordx4 v[19:22], v2, s[8:11], 0 offen
	s_load_dword s2, s[4:5], 0xa8
	s_load_dword s11, s[4:5], 0xb4
	s_load_dwordx2 s[36:37], s[4:5], 0x1e8
	s_sub_i32 s16, s16, s18
	v_lshrrev_b32_e32 v3, 5, v0
	v_lshlrev_b32_e32 v5, 1, v0
	s_waitcnt lgkmcnt(0)
	v_cmp_gt_i32_e64 s[0:1], s11, v24
	v_cmp_gt_i32_e64 s[6:7], s16, v4
	v_lshlrev_b32_e32 v2, 6, v3
	v_and_b32_e32 v33, 0x1f8, v5
	v_cmp_gt_i32_e32 vcc, s2, v28
	v_cmp_le_i32_e64 s[2:3], s48, v4
	s_and_b64 s[0:1], s[6:7], s[0:1]
	v_sub_u32_e32 v2, v33, v2
	v_lshlrev_b32_e32 v0, 2, v0
	s_and_b64 s[0:1], s[0:1], s[2:3]
	v_and_or_b32 v1, v0, 4, v2
	v_lshlrev_b32_e32 v0, 3, v3
	s_and_b64 s[0:1], vcc, s[0:1]
	v_add_u32_e32 v24, v4, v29
	v_and_or_b32 v0, v5, 4, v0
	v_cmp_gt_i32_e64 s[6:7], s16, v24
	v_cmp_le_i32_e64 s[2:3], s48, v24
	s_load_dwordx2 s[40:41], s[4:5], 0x198
	s_load_dwordx2 s[34:35], s[4:5], 0x1a8
	s_load_dword s17, s[4:5], 0x1b4
	s_load_dword s33, s[4:5], 0x1c0
	buffer_store_dword v26, off, s[60:63], 0 offset:4 ; 4-byte Folded Spill
	s_mov_b32 s12, 0
	s_mov_b32 s31, s23
	s_lshl_b32 s18, s57, 5
	v_lshlrev_b32_e32 v6, 1, v6
	s_lshl_b32 s37, s57, 6
	s_waitcnt lgkmcnt(0)
	s_lshl_b32 s41, s55, 5
	v_mov_b32_e32 v58, 0
	v_mov_b32_e32 v48, 0
	;; [unrolled: 1-line block ×22, first 2 shown]
	s_waitcnt vmcnt(4)
	v_cndmask_b32_e64 v5, 0, v10, s[0:1]
	v_cndmask_b32_e64 v9, 0, v9, s[0:1]
	;; [unrolled: 1-line block ×4, first 2 shown]
	v_cmp_gt_i32_e64 s[0:1], s11, v26
	s_and_b64 s[0:1], s[6:7], s[0:1]
	s_and_b64 s[0:1], s[0:1], s[2:3]
	s_and_b64 s[0:1], vcc, s[0:1]
	v_cmp_gt_i32_e64 s[2:3], s52, v25
	v_add_u32_e32 v7, s47, v25
	s_sub_i32 s47, 0, s49
	v_mov_b32_e32 v84, 0
	v_mov_b32_e32 v86, 0
	;; [unrolled: 1-line block ×6, first 2 shown]
	s_waitcnt vmcnt(3)
	v_cndmask_b32_e64 v4, 0, v14, s[0:1]
	v_cndmask_b32_e64 v13, 0, v13, s[0:1]
	;; [unrolled: 1-line block ×4, first 2 shown]
	v_cmp_gt_i32_e64 s[0:1], s30, v30
	s_and_b64 s[2:3], s[2:3], s[0:1]
	s_mov_b32 s30, s10
	s_sub_i32 s10, s56, 32
	s_waitcnt vmcnt(2)
	v_cndmask_b32_e64 v14, 0, v18, s[2:3]
	v_cndmask_b32_e64 v17, 0, v17, s[2:3]
	;; [unrolled: 1-line block ×4, first 2 shown]
	v_cmp_gt_i32_e64 s[2:3], s52, v7
	v_lshlrev_b32_e32 v7, 2, v27
	s_and_b64 s[2:3], s[2:3], s[0:1]
	v_lshl_or_b32 v2, v23, 9, v7
	s_waitcnt vmcnt(1)
	v_cndmask_b32_e64 v18, 0, v22, s[2:3]
	v_cndmask_b32_e64 v21, 0, v21, s[2:3]
	v_cndmask_b32_e64 v20, 0, v20, s[2:3]
	v_cndmask_b32_e64 v19, 0, v19, s[2:3]
	ds_write2st64_b32 v2, v10, v8 offset1:2
	ds_write2st64_b32 v2, v9, v5 offset0:4 offset1:6
	ds_write2st64_b32 v2, v11, v12 offset0:8 offset1:10
	;; [unrolled: 1-line block ×6, first 2 shown]
	buffer_store_dword v0, off, s[60:63], 0 offset:132 ; 4-byte Folded Spill
	v_lshlrev_b32_e32 v0, 2, v0
	buffer_store_dword v2, off, s[60:63], 0 offset:76 ; 4-byte Folded Spill
	ds_write2st64_b32 v2, v21, v18 offset0:76 offset1:78
	buffer_store_dword v0, off, s[60:63], 0 offset:68 ; 4-byte Folded Spill
	buffer_store_dword v1, off, s[60:63], 0 offset:128 ; 4-byte Folded Spill
	v_lshlrev_b32_e32 v0, 2, v1
	v_or_b32_e32 v19, 36, v23
	buffer_store_dword v0, off, s[60:63], 0 offset:72 ; 4-byte Folded Spill
	v_mul_lo_u32 v0, s57, v19
	v_or_b32_e32 v20, 32, v23
	v_mul_lo_u32 v1, s57, v20
	v_or_b32_e32 v18, 20, v23
	;; [unrolled: 2-line block ×3, first 2 shown]
	v_mul_lo_u32 v3, s57, v17
	buffer_store_dword v0, off, s[60:63], 0 offset:80 ; 4-byte Folded Spill
	v_lshlrev_b32_e32 v0, 1, v0
	buffer_store_dword v0, off, s[60:63], 0 offset:96 ; 4-byte Folded Spill
	v_lshlrev_b32_e32 v0, 1, v1
	buffer_store_dword v1, off, s[60:63], 0 offset:84 ; 4-byte Folded Spill
	buffer_store_dword v0, off, s[60:63], 0 offset:100 ; 4-byte Folded Spill
	;; [unrolled: 1-line block ×3, first 2 shown]
	v_lshlrev_b32_e32 v0, 1, v2
	buffer_store_dword v0, off, s[60:63], 0 offset:104 ; 4-byte Folded Spill
	buffer_store_dword v3, off, s[60:63], 0 offset:92 ; 4-byte Folded Spill
	v_lshlrev_b32_e32 v0, 1, v3
	buffer_store_dword v0, off, s[60:63], 0 offset:108 ; 4-byte Folded Spill
	v_mul_lo_u32 v0, s55, v17
	v_mul_lo_u32 v1, s55, v18
	;; [unrolled: 1-line block ×4, first 2 shown]
	s_mul_i32 s2, s55, 12
	s_add_i32 s55, s58, s2
	s_mov_b32 s56, 0
	v_mov_b32_e32 v4, 0
	v_mov_b32_e32 v22, 0
	;; [unrolled: 1-line block ×31, first 2 shown]
	s_mov_b32 s57, 0
	buffer_store_dword v2, off, s[60:63], 0 offset:120 ; 4-byte Folded Spill
	buffer_store_dword v3, off, s[60:63], 0 offset:124 ; 4-byte Folded Spill
	;; [unrolled: 1-line block ×4, first 2 shown]
.LBB2_1:                                ; =>This Inner Loop Header: Depth=1
	buffer_store_dword v0, off, s[60:63], 0 offset:20 ; 4-byte Folded Spill
	buffer_store_dword v1, off, s[60:63], 0 offset:16 ; 4-byte Folded Spill
	;; [unrolled: 1-line block ×4, first 2 shown]
	buffer_store_dword v6, off, s[60:63], 0 ; 4-byte Folded Spill
	v_mul_hi_u32 v29, s50, v0
	buffer_load_dword v0, off, s[60:63], 0 offset:112 ; 4-byte Folded Reload
	v_mul_hi_u32 v36, s50, v1
	v_mul_hi_u32 v7, s50, v2
	v_mul_hi_u32 v28, s50, v3
	s_add_i32 s57, s57, 32
	buffer_load_dword v2, off, s[60:63], 0 offset:108 ; 4-byte Folded Reload
	s_waitcnt vmcnt(1)
	v_add_u32_e32 v30, s12, v0
	v_add_u32_e32 v29, v30, v29
	v_lshrrev_b32_e32 v37, s51, v29
	v_mul_lo_u32 v29, s47, v37
	v_sub_u32_e32 v1, v37, v31
	v_mul_lo_u32 v1, v1, s46
	v_cmp_gt_i32_e64 s[2:3], s11, v30
	v_sub_u32_e32 v25, v29, v32
	v_add_u32_e32 v25, v30, v25
	v_add_u32_e32 v39, v1, v24
	v_mul_lo_u32 v0, v1, s13
	v_mul_lo_u32 v1, v25, s14
	v_cmp_gt_i32_e64 s[8:9], s16, v39
	v_cmp_le_i32_e64 s[6:7], s48, v39
	s_and_b64 s[2:3], s[8:9], s[2:3]
	v_add3_u32 v26, v0, v34, v1
	buffer_load_dword v0, off, s[60:63], 0 offset:92 ; 4-byte Folded Reload
	s_and_b64 s[2:3], s[2:3], s[6:7]
	s_and_b64 s[2:3], vcc, s[2:3]
	v_add_u32_e32 v38, v30, v29
	s_waitcnt vmcnt(0)
	v_add_u32_e32 v40, s56, v0
	v_lshlrev_b32_e32 v0, 1, v26
	buffer_load_dwordx4 v[32:35], v0, s[20:23], 0 offen
	s_waitcnt vmcnt(0)
	v_cndmask_b32_e64 v31, 0, v33, s[2:3]
	buffer_load_dword v0, off, s[60:63], 0 offset:116 ; 4-byte Folded Reload
	v_cndmask_b32_e64 v29, 0, v35, s[2:3]
	v_cndmask_b32_e64 v30, 0, v34, s[2:3]
	;; [unrolled: 1-line block ×3, first 2 shown]
	s_waitcnt vmcnt(0)
	v_add_u32_e32 v33, s12, v0
	v_add_u32_e32 v0, v33, v36
	v_lshrrev_b32_e32 v5, s51, v0
	v_mad_u64_u32 v[0:1], s[2:3], s47, v5, v[33:34]
	v_sub_u32_e32 v1, v5, v37
	v_mul_lo_u32 v35, v1, s46
	v_sub_u32_e32 v34, v0, v38
	v_mul_lo_u32 v34, v34, s14
	v_cmp_gt_i32_e64 s[2:3], s11, v33
	v_add_u32_e32 v1, v35, v39
	v_mul_lo_u32 v35, v35, s13
	v_cmp_gt_i32_e64 s[8:9], s16, v1
	v_cmp_le_i32_e64 s[6:7], s48, v1
	s_and_b64 s[2:3], s[8:9], s[2:3]
	v_add3_u32 v26, v26, v35, v34
	v_lshlrev_b32_e32 v34, 1, v26
	buffer_load_dwordx4 v[36:39], v34, s[20:23], 0 offen
	s_and_b64 s[2:3], s[2:3], s[6:7]
	s_and_b64 s[2:3], vcc, s[2:3]
	s_waitcnt vmcnt(0)
	v_cndmask_b32_e64 v35, 0, v37, s[2:3]
	v_add_u32_e32 v37, v2, v6
	buffer_load_dword v2, off, s[60:63], 0 offset:88 ; 4-byte Folded Reload
	buffer_load_dwordx4 v[107:110], v37, s[28:31], 0 offen
	v_cndmask_b32_e64 v33, 0, v39, s[2:3]
	v_cndmask_b32_e64 v34, 0, v38, s[2:3]
	;; [unrolled: 1-line block ×3, first 2 shown]
	v_cmp_gt_i32_e64 s[2:3], s52, v40
	s_and_b64 s[2:3], s[0:1], s[2:3]
	s_waitcnt vmcnt(1)
	v_add_u32_e32 v41, s56, v2
	buffer_load_dword v2, off, s[60:63], 0 offset:104 ; 4-byte Folded Reload
	s_waitcnt vmcnt(1)
	v_cndmask_b32_e64 v13, 0, v110, s[2:3]
	v_cndmask_b32_e64 v38, 0, v109, s[2:3]
	;; [unrolled: 1-line block ×4, first 2 shown]
	v_cmp_gt_i32_e64 s[2:3], s52, v41
	s_and_b64 s[2:3], s[0:1], s[2:3]
	s_waitcnt vmcnt(0)
	v_add_u32_e32 v42, v2, v6
	buffer_load_dwordx4 v[108:111], v42, s[28:31], 0 offen
	s_waitcnt vmcnt(0) lgkmcnt(0)
	s_barrier
	buffer_load_dword v25, off, s[60:63], 0 offset:68 ; 4-byte Folded Reload
	buffer_load_dword v24, off, s[60:63], 0 offset:72 ; 4-byte Folded Reload
	v_cndmask_b32_e64 v41, 0, v111, s[2:3]
	v_cndmask_b32_e64 v42, 0, v110, s[2:3]
	;; [unrolled: 1-line block ×3, first 2 shown]
	s_waitcnt vmcnt(1)
	ds_read_b128 v[109:112], v25
	s_waitcnt vmcnt(0)
	ds_read_b128 v[113:116], v24 offset:16384
	ds_read_b128 v[117:120], v24 offset:16640
	;; [unrolled: 1-line block ×3, first 2 shown]
	v_cndmask_b32_e64 v108, 0, v108, s[2:3]
	s_waitcnt lgkmcnt(2)
	v_dot2_f32_f16 v106, v109, v113, v106
	v_dot2_f32_f16 v105, v109, v114, v105
	;; [unrolled: 1-line block ×16, first 2 shown]
	s_waitcnt lgkmcnt(1)
	v_dot2_f32_f16 v98, v109, v117, v98
	v_dot2_f32_f16 v97, v109, v118, v97
	;; [unrolled: 1-line block ×16, first 2 shown]
	ds_read_b128 v[72:75], v25 offset:512
	s_waitcnt lgkmcnt(1)
	v_dot2_f32_f16 v67, v121, v113, v67
	v_dot2_f32_f16 v66, v121, v114, v66
	;; [unrolled: 1-line block ×16, first 2 shown]
	ds_read_b128 v[60:63], v24 offset:16896
	v_dot2_f32_f16 v59, v121, v117, v59
	v_dot2_f32_f16 v114, v121, v118, v57
	;; [unrolled: 1-line block ×9, first 2 shown]
	ds_read_b128 v[43:46], v24 offset:17152
	ds_read_b128 v[47:50], v25 offset:768
	v_dot2_f32_f16 v8, v123, v118, v23
	v_dot2_f32_f16 v9, v123, v119, v22
	;; [unrolled: 1-line block ×7, first 2 shown]
	s_waitcnt lgkmcnt(2)
	v_dot2_f32_f16 v106, v72, v60, v106
	v_dot2_f32_f16 v105, v72, v61, v105
	;; [unrolled: 1-line block ×16, first 2 shown]
	s_waitcnt lgkmcnt(1)
	v_dot2_f32_f16 v98, v72, v43, v98
	v_dot2_f32_f16 v97, v72, v44, v97
	;; [unrolled: 1-line block ×16, first 2 shown]
	ds_read_b128 v[51:54], v25 offset:1024
	s_waitcnt lgkmcnt(1)
	v_dot2_f32_f16 v67, v47, v60, v67
	v_dot2_f32_f16 v66, v47, v61, v66
	;; [unrolled: 1-line block ×16, first 2 shown]
	ds_read_b128 v[55:58], v24 offset:17408
	v_dot2_f32_f16 v59, v47, v43, v59
	v_dot2_f32_f16 v78, v47, v44, v114
	;; [unrolled: 1-line block ×16, first 2 shown]
	ds_read_b128 v[43:46], v24 offset:17664
	ds_read_b128 v[47:50], v25 offset:1280
	s_waitcnt lgkmcnt(2)
	v_dot2_f32_f16 v106, v51, v55, v106
	v_dot2_f32_f16 v105, v51, v56, v105
	;; [unrolled: 1-line block ×16, first 2 shown]
	s_waitcnt lgkmcnt(1)
	v_dot2_f32_f16 v98, v51, v43, v98
	v_dot2_f32_f16 v97, v51, v44, v97
	;; [unrolled: 1-line block ×16, first 2 shown]
	ds_read_b128 v[51:54], v25 offset:1536
	s_waitcnt lgkmcnt(1)
	v_dot2_f32_f16 v67, v47, v55, v67
	v_dot2_f32_f16 v66, v47, v56, v66
	v_dot2_f32_f16 v65, v47, v57, v65
	v_dot2_f32_f16 v64, v47, v58, v64
	v_dot2_f32_f16 v109, v48, v55, v109
	v_dot2_f32_f16 v110, v48, v56, v110
	v_dot2_f32_f16 v111, v48, v57, v111
	v_dot2_f32_f16 v2, v48, v58, v2
	v_dot2_f32_f16 v112, v49, v55, v112
	v_dot2_f32_f16 v116, v49, v56, v117
	v_dot2_f32_f16 v3, v49, v57, v3
	v_dot2_f32_f16 v12, v49, v58, v12
	v_dot2_f32_f16 v60, v50, v55, v60
	v_dot2_f32_f16 v61, v50, v56, v61
	v_dot2_f32_f16 v62, v50, v57, v62
	v_dot2_f32_f16 v63, v50, v58, v63
	ds_read_b128 v[55:58], v24 offset:17920
	v_dot2_f32_f16 v59, v47, v43, v59
	v_dot2_f32_f16 v78, v47, v44, v78
	;; [unrolled: 1-line block ×16, first 2 shown]
	ds_read_b128 v[43:46], v24 offset:18176
	ds_read_b128 v[47:50], v25 offset:1792
	s_waitcnt lgkmcnt(2)
	v_dot2_f32_f16 v106, v51, v55, v106
	v_dot2_f32_f16 v105, v51, v56, v105
	;; [unrolled: 1-line block ×16, first 2 shown]
	s_waitcnt lgkmcnt(1)
	v_dot2_f32_f16 v98, v51, v43, v98
	v_dot2_f32_f16 v97, v51, v44, v97
	;; [unrolled: 1-line block ×16, first 2 shown]
	ds_read_b128 v[51:54], v25 offset:2048
	s_waitcnt lgkmcnt(1)
	v_dot2_f32_f16 v67, v47, v55, v67
	v_dot2_f32_f16 v66, v47, v56, v66
	;; [unrolled: 1-line block ×16, first 2 shown]
	ds_read_b128 v[55:58], v24 offset:18432
	v_dot2_f32_f16 v59, v47, v43, v59
	v_dot2_f32_f16 v78, v47, v44, v78
	;; [unrolled: 1-line block ×16, first 2 shown]
	ds_read_b128 v[43:46], v24 offset:18688
	ds_read_b128 v[47:50], v25 offset:2304
	s_waitcnt lgkmcnt(2)
	v_dot2_f32_f16 v106, v51, v55, v106
	v_dot2_f32_f16 v105, v51, v56, v105
	;; [unrolled: 1-line block ×16, first 2 shown]
	s_waitcnt lgkmcnt(1)
	v_dot2_f32_f16 v98, v51, v43, v98
	v_dot2_f32_f16 v97, v51, v44, v97
	;; [unrolled: 1-line block ×16, first 2 shown]
	ds_read_b128 v[51:54], v25 offset:2560
	s_waitcnt lgkmcnt(1)
	v_dot2_f32_f16 v67, v47, v55, v67
	v_dot2_f32_f16 v66, v47, v56, v66
	;; [unrolled: 1-line block ×16, first 2 shown]
	ds_read_b128 v[55:58], v24 offset:18944
	v_dot2_f32_f16 v59, v47, v43, v59
	v_dot2_f32_f16 v78, v47, v44, v78
	;; [unrolled: 1-line block ×16, first 2 shown]
	ds_read_b128 v[43:46], v24 offset:19200
	ds_read_b128 v[47:50], v25 offset:2816
	s_waitcnt lgkmcnt(2)
	v_dot2_f32_f16 v106, v51, v55, v106
	v_dot2_f32_f16 v105, v51, v56, v105
	v_dot2_f32_f16 v104, v51, v57, v104
	v_dot2_f32_f16 v103, v51, v58, v103
	v_dot2_f32_f16 v102, v52, v55, v102
	v_dot2_f32_f16 v101, v52, v56, v101
	v_dot2_f32_f16 v100, v52, v57, v100
	v_dot2_f32_f16 v99, v52, v58, v99
	v_dot2_f32_f16 v96, v53, v55, v96
	v_dot2_f32_f16 v94, v53, v56, v94
	v_dot2_f32_f16 v92, v53, v57, v92
	v_dot2_f32_f16 v91, v53, v58, v91
	v_dot2_f32_f16 v88, v54, v55, v88
	v_dot2_f32_f16 v86, v54, v56, v86
	v_dot2_f32_f16 v84, v54, v57, v84
	v_dot2_f32_f16 v83, v54, v58, v83
	s_waitcnt lgkmcnt(1)
	v_dot2_f32_f16 v98, v51, v43, v98
	v_dot2_f32_f16 v97, v51, v44, v97
	;; [unrolled: 1-line block ×16, first 2 shown]
	ds_read_b128 v[51:54], v25 offset:3072
	s_waitcnt lgkmcnt(1)
	v_dot2_f32_f16 v67, v47, v55, v67
	v_dot2_f32_f16 v66, v47, v56, v66
	;; [unrolled: 1-line block ×16, first 2 shown]
	ds_read_b128 v[55:58], v24 offset:19456
	v_dot2_f32_f16 v59, v47, v43, v59
	v_dot2_f32_f16 v78, v47, v44, v78
	;; [unrolled: 1-line block ×16, first 2 shown]
	ds_read_b128 v[43:46], v24 offset:19712
	ds_read_b128 v[47:50], v25 offset:3328
	s_waitcnt lgkmcnt(2)
	v_dot2_f32_f16 v106, v51, v55, v106
	v_dot2_f32_f16 v105, v51, v56, v105
	v_dot2_f32_f16 v104, v51, v57, v104
	v_dot2_f32_f16 v103, v51, v58, v103
	v_dot2_f32_f16 v102, v52, v55, v102
	v_dot2_f32_f16 v101, v52, v56, v101
	v_dot2_f32_f16 v100, v52, v57, v100
	v_dot2_f32_f16 v99, v52, v58, v99
	v_dot2_f32_f16 v96, v53, v55, v96
	v_dot2_f32_f16 v94, v53, v56, v94
	v_dot2_f32_f16 v92, v53, v57, v92
	v_dot2_f32_f16 v91, v53, v58, v91
	v_dot2_f32_f16 v88, v54, v55, v88
	v_dot2_f32_f16 v86, v54, v56, v86
	v_dot2_f32_f16 v84, v54, v57, v84
	v_dot2_f32_f16 v83, v54, v58, v83
	s_waitcnt lgkmcnt(1)
	v_dot2_f32_f16 v98, v51, v43, v98
	v_dot2_f32_f16 v97, v51, v44, v97
	;; [unrolled: 1-line block ×16, first 2 shown]
	ds_read_b128 v[51:54], v25 offset:3584
	s_waitcnt lgkmcnt(1)
	v_dot2_f32_f16 v67, v47, v55, v67
	v_dot2_f32_f16 v66, v47, v56, v66
	;; [unrolled: 1-line block ×16, first 2 shown]
	ds_read_b128 v[55:58], v24 offset:19968
	v_dot2_f32_f16 v59, v47, v43, v59
	v_dot2_f32_f16 v78, v47, v44, v78
	;; [unrolled: 1-line block ×16, first 2 shown]
	ds_read_b128 v[43:46], v24 offset:20224
	ds_read_b128 v[47:50], v25 offset:3840
	s_waitcnt lgkmcnt(2)
	v_dot2_f32_f16 v106, v51, v55, v106
	v_dot2_f32_f16 v105, v51, v56, v105
	;; [unrolled: 1-line block ×16, first 2 shown]
	s_waitcnt lgkmcnt(1)
	v_dot2_f32_f16 v98, v51, v43, v98
	v_dot2_f32_f16 v97, v51, v44, v97
	v_dot2_f32_f16 v95, v51, v45, v95
	v_dot2_f32_f16 v72, v51, v46, v72
	v_dot2_f32_f16 v90, v52, v43, v90
	v_dot2_f32_f16 v89, v52, v44, v89
	v_dot2_f32_f16 v87, v52, v45, v87
	v_dot2_f32_f16 v73, v52, v46, v73
	v_dot2_f32_f16 v82, v53, v43, v82
	v_dot2_f32_f16 v81, v53, v44, v81
	v_dot2_f32_f16 v77, v53, v45, v77
	v_dot2_f32_f16 v74, v53, v46, v74
	v_dot2_f32_f16 v76, v54, v43, v76
	v_dot2_f32_f16 v85, v54, v44, v85
	v_dot2_f32_f16 v93, v54, v45, v93
	v_dot2_f32_f16 v75, v54, v46, v75
	ds_read_b128 v[51:54], v25 offset:4096
	s_waitcnt lgkmcnt(1)
	v_dot2_f32_f16 v67, v47, v55, v67
	v_dot2_f32_f16 v66, v47, v56, v66
	v_dot2_f32_f16 v65, v47, v57, v65
	v_dot2_f32_f16 v64, v47, v58, v64
	v_dot2_f32_f16 v109, v48, v55, v109
	v_dot2_f32_f16 v110, v48, v56, v110
	v_dot2_f32_f16 v111, v48, v57, v111
	v_dot2_f32_f16 v2, v48, v58, v2
	v_dot2_f32_f16 v112, v49, v55, v112
	v_dot2_f32_f16 v116, v49, v56, v116
	v_dot2_f32_f16 v3, v49, v57, v3
	v_dot2_f32_f16 v12, v49, v58, v12
	v_dot2_f32_f16 v60, v50, v55, v60
	v_dot2_f32_f16 v61, v50, v56, v61
	v_dot2_f32_f16 v62, v50, v57, v62
	v_dot2_f32_f16 v63, v50, v58, v63
	ds_read_b128 v[55:58], v24 offset:20480
	v_dot2_f32_f16 v59, v47, v43, v59
	v_dot2_f32_f16 v78, v47, v44, v78
	;; [unrolled: 1-line block ×16, first 2 shown]
	ds_read_b128 v[43:46], v24 offset:20736
	ds_read_b128 v[47:50], v25 offset:4352
	s_waitcnt lgkmcnt(2)
	v_dot2_f32_f16 v106, v51, v55, v106
	v_dot2_f32_f16 v105, v51, v56, v105
	;; [unrolled: 1-line block ×16, first 2 shown]
	s_waitcnt lgkmcnt(1)
	v_dot2_f32_f16 v98, v51, v43, v98
	v_dot2_f32_f16 v97, v51, v44, v97
	;; [unrolled: 1-line block ×16, first 2 shown]
	ds_read_b128 v[51:54], v25 offset:4608
	s_waitcnt lgkmcnt(1)
	v_dot2_f32_f16 v67, v47, v55, v67
	v_dot2_f32_f16 v66, v47, v56, v66
	;; [unrolled: 1-line block ×16, first 2 shown]
	ds_read_b128 v[55:58], v24 offset:20992
	v_dot2_f32_f16 v59, v47, v43, v59
	v_dot2_f32_f16 v78, v47, v44, v78
	;; [unrolled: 1-line block ×16, first 2 shown]
	ds_read_b128 v[43:46], v24 offset:21248
	ds_read_b128 v[47:50], v25 offset:4864
	s_waitcnt lgkmcnt(2)
	v_dot2_f32_f16 v106, v51, v55, v106
	v_dot2_f32_f16 v105, v51, v56, v105
	;; [unrolled: 1-line block ×16, first 2 shown]
	s_waitcnt lgkmcnt(1)
	v_dot2_f32_f16 v98, v51, v43, v98
	v_dot2_f32_f16 v97, v51, v44, v97
	;; [unrolled: 1-line block ×16, first 2 shown]
	ds_read_b128 v[51:54], v25 offset:5120
	s_waitcnt lgkmcnt(1)
	v_dot2_f32_f16 v67, v47, v55, v67
	v_dot2_f32_f16 v66, v47, v56, v66
	;; [unrolled: 1-line block ×16, first 2 shown]
	ds_read_b128 v[55:58], v24 offset:21504
	v_dot2_f32_f16 v59, v47, v43, v59
	v_dot2_f32_f16 v78, v47, v44, v78
	;; [unrolled: 1-line block ×16, first 2 shown]
	ds_read_b128 v[43:46], v24 offset:21760
	ds_read_b128 v[47:50], v25 offset:5376
	s_waitcnt lgkmcnt(2)
	v_dot2_f32_f16 v106, v51, v55, v106
	v_dot2_f32_f16 v105, v51, v56, v105
	;; [unrolled: 1-line block ×16, first 2 shown]
	s_waitcnt lgkmcnt(1)
	v_dot2_f32_f16 v98, v51, v43, v98
	v_dot2_f32_f16 v97, v51, v44, v97
	;; [unrolled: 1-line block ×16, first 2 shown]
	ds_read_b128 v[51:54], v25 offset:5632
	s_waitcnt lgkmcnt(1)
	v_dot2_f32_f16 v67, v47, v55, v67
	v_dot2_f32_f16 v66, v47, v56, v66
	;; [unrolled: 1-line block ×16, first 2 shown]
	ds_read_b128 v[55:58], v24 offset:22016
	v_dot2_f32_f16 v59, v47, v43, v59
	v_dot2_f32_f16 v78, v47, v44, v78
	;; [unrolled: 1-line block ×16, first 2 shown]
	ds_read_b128 v[43:46], v24 offset:22272
	ds_read_b128 v[47:50], v25 offset:5888
	s_waitcnt lgkmcnt(2)
	v_dot2_f32_f16 v106, v51, v55, v106
	v_dot2_f32_f16 v105, v51, v56, v105
	v_dot2_f32_f16 v104, v51, v57, v104
	v_dot2_f32_f16 v103, v51, v58, v103
	v_dot2_f32_f16 v102, v52, v55, v102
	v_dot2_f32_f16 v101, v52, v56, v101
	v_dot2_f32_f16 v100, v52, v57, v100
	v_dot2_f32_f16 v99, v52, v58, v99
	v_dot2_f32_f16 v96, v53, v55, v96
	v_dot2_f32_f16 v94, v53, v56, v94
	v_dot2_f32_f16 v92, v53, v57, v92
	v_dot2_f32_f16 v91, v53, v58, v91
	v_dot2_f32_f16 v88, v54, v55, v88
	v_dot2_f32_f16 v86, v54, v56, v86
	v_dot2_f32_f16 v84, v54, v57, v84
	v_dot2_f32_f16 v83, v54, v58, v83
	s_waitcnt lgkmcnt(1)
	v_dot2_f32_f16 v98, v51, v43, v98
	v_dot2_f32_f16 v97, v51, v44, v97
	;; [unrolled: 1-line block ×16, first 2 shown]
	ds_read_b128 v[51:54], v25 offset:6144
	s_waitcnt lgkmcnt(1)
	v_dot2_f32_f16 v67, v47, v55, v67
	v_dot2_f32_f16 v66, v47, v56, v66
	;; [unrolled: 1-line block ×16, first 2 shown]
	ds_read_b128 v[55:58], v24 offset:22528
	v_dot2_f32_f16 v59, v47, v43, v59
	v_dot2_f32_f16 v78, v47, v44, v78
	;; [unrolled: 1-line block ×16, first 2 shown]
	ds_read_b128 v[43:46], v24 offset:22784
	ds_read_b128 v[47:50], v25 offset:6400
	s_waitcnt lgkmcnt(2)
	v_dot2_f32_f16 v106, v51, v55, v106
	v_dot2_f32_f16 v105, v51, v56, v105
	;; [unrolled: 1-line block ×16, first 2 shown]
	s_waitcnt lgkmcnt(1)
	v_dot2_f32_f16 v98, v51, v43, v98
	v_dot2_f32_f16 v97, v51, v44, v97
	;; [unrolled: 1-line block ×16, first 2 shown]
	ds_read_b128 v[51:54], v25 offset:6656
	s_waitcnt lgkmcnt(1)
	v_dot2_f32_f16 v67, v47, v55, v67
	v_dot2_f32_f16 v66, v47, v56, v66
	;; [unrolled: 1-line block ×16, first 2 shown]
	ds_read_b128 v[55:58], v24 offset:23040
	v_dot2_f32_f16 v59, v47, v43, v59
	v_dot2_f32_f16 v78, v47, v44, v78
	;; [unrolled: 1-line block ×16, first 2 shown]
	ds_read_b128 v[43:46], v24 offset:23296
	ds_read_b128 v[47:50], v25 offset:6912
	s_waitcnt lgkmcnt(2)
	v_dot2_f32_f16 v106, v51, v55, v106
	v_dot2_f32_f16 v105, v51, v56, v105
	;; [unrolled: 1-line block ×16, first 2 shown]
	s_waitcnt lgkmcnt(1)
	v_dot2_f32_f16 v98, v51, v43, v98
	v_dot2_f32_f16 v97, v51, v44, v97
	;; [unrolled: 1-line block ×16, first 2 shown]
	ds_read_b128 v[51:54], v25 offset:7168
	s_waitcnt lgkmcnt(1)
	v_dot2_f32_f16 v67, v47, v55, v67
	v_dot2_f32_f16 v66, v47, v56, v66
	;; [unrolled: 1-line block ×16, first 2 shown]
	ds_read_b128 v[55:58], v24 offset:23552
	v_dot2_f32_f16 v59, v47, v43, v59
	v_dot2_f32_f16 v78, v47, v44, v78
	;; [unrolled: 1-line block ×16, first 2 shown]
	ds_read_b128 v[43:46], v24 offset:23808
	ds_read_b128 v[47:50], v25 offset:7424
	s_waitcnt lgkmcnt(2)
	v_dot2_f32_f16 v106, v51, v55, v106
	v_dot2_f32_f16 v105, v51, v56, v105
	;; [unrolled: 1-line block ×16, first 2 shown]
	s_waitcnt lgkmcnt(1)
	v_dot2_f32_f16 v98, v51, v43, v98
	v_dot2_f32_f16 v97, v51, v44, v97
	;; [unrolled: 1-line block ×16, first 2 shown]
	ds_read_b128 v[51:54], v25 offset:7680
	s_waitcnt lgkmcnt(1)
	v_dot2_f32_f16 v67, v47, v55, v67
	v_dot2_f32_f16 v66, v47, v56, v66
	;; [unrolled: 1-line block ×16, first 2 shown]
	ds_read_b128 v[55:58], v24 offset:24064
	v_dot2_f32_f16 v21, v48, v43, v113
	v_dot2_f32_f16 v14, v48, v44, v14
	;; [unrolled: 1-line block ×8, first 2 shown]
	ds_read_b128 v[109:112], v24 offset:24320
	ds_read_b128 v[113:116], v25 offset:7936
	buffer_load_dword v37, off, s[60:63], 0 offset:76 ; 4-byte Folded Reload
	s_waitcnt vmcnt(0)
	ds_write2st64_b32 v37, v32, v31 offset0:32 offset1:34
	ds_write2st64_b32 v37, v30, v29 offset0:36 offset1:38
	;; [unrolled: 1-line block ×8, first 2 shown]
	buffer_load_dword v4, off, s[60:63], 0 offset:124 ; 4-byte Folded Reload
	v_dot2_f32_f16 v59, v47, v43, v59
	v_dot2_f32_f16 v76, v47, v44, v78
	;; [unrolled: 1-line block ×4, first 2 shown]
	s_waitcnt lgkmcnt(10)
	v_dot2_f32_f16 v79, v52, v55, v102
	v_dot2_f32_f16 v80, v52, v56, v101
	;; [unrolled: 1-line block ×8, first 2 shown]
	s_waitcnt lgkmcnt(9)
	v_dot2_f32_f16 v99, v53, v109, v123
	v_dot2_f32_f16 v100, v53, v110, v124
	;; [unrolled: 1-line block ×4, first 2 shown]
	s_waitcnt lgkmcnt(8)
	v_dot2_f32_f16 v53, v115, v111, v9
	v_dot2_f32_f16 v124, v113, v56, v66
	;; [unrolled: 1-line block ×56, first 2 shown]
	s_waitcnt vmcnt(0)
	v_add_u32_e32 v29, s12, v4
	v_add_u32_e32 v9, v29, v28
	v_lshrrev_b32_e32 v9, s51, v9
	v_mad_u64_u32 v[35:36], s[2:3], s47, v9, v[29:30]
	v_sub_u32_e32 v14, v9, v5
	v_mul_lo_u32 v14, v14, s46
	v_sub_u32_e32 v0, v35, v0
	v_mul_lo_u32 v0, v0, s14
	v_cmp_gt_i32_e64 s[2:3], s11, v29
	v_add_u32_e32 v15, v14, v1
	v_mul_lo_u32 v1, v14, s13
	v_cmp_gt_i32_e64 s[8:9], s16, v15
	v_cmp_le_i32_e64 s[6:7], s48, v15
	s_and_b64 s[2:3], s[8:9], s[2:3]
	v_add3_u32 v14, v0, v1, v26
	buffer_load_dword v0, off, s[60:63], 0 offset:84 ; 4-byte Folded Reload
	buffer_load_dword v1, off, s[60:63], 0 offset:4 ; 4-byte Folded Reload
	s_and_b64 s[2:3], s[2:3], s[6:7]
	s_and_b64 s[2:3], vcc, s[2:3]
	s_waitcnt vmcnt(1)
	v_add_u32_e32 v20, s56, v0
	v_lshlrev_b32_e32 v0, 1, v14
	buffer_load_dwordx4 v[28:31], v0, s[20:23], 0 offen
	s_waitcnt vmcnt(0)
	v_cndmask_b32_e64 v0, 0, v31, s[2:3]
	buffer_store_dword v0, off, s[60:63], 0 offset:40 ; 4-byte Folded Spill
	v_cndmask_b32_e64 v0, 0, v30, s[2:3]
	buffer_store_dword v0, off, s[60:63], 0 offset:44 ; 4-byte Folded Spill
	;; [unrolled: 2-line block ×4, first 2 shown]
	buffer_load_dword v0, off, s[60:63], 0 offset:120 ; 4-byte Folded Reload
	s_add_i32 s2, s55, s55
	v_add_u32_e32 v1, s2, v1
	buffer_store_dword v1, off, s[60:63], 0 offset:4 ; 4-byte Folded Spill
	s_waitcnt vmcnt(1)
	v_add_u32_e32 v28, s12, v0
	v_add_u32_e32 v0, v28, v7
	v_lshrrev_b32_e32 v36, s51, v0
	v_mul_lo_u32 v0, v36, s49
	v_mad_u64_u32 v[26:27], s[2:3], s47, v36, v[28:29]
	v_cmp_gt_i32_e64 s[2:3], s11, v28
	v_sub_u32_e32 v0, v1, v0
	buffer_store_dword v0, off, s[60:63], 0 offset:56 ; 4-byte Folded Spill
	v_sub_u32_e32 v0, v36, v9
	v_mul_lo_u32 v9, v0, s46
	v_sub_u32_e32 v21, v26, v35
	s_add_i32 s12, s12, s41
	v_add_u32_e32 v38, v9, v15
	v_mul_lo_u32 v9, v9, s13
	v_mul_lo_u32 v15, v21, s14
	v_cmp_gt_i32_e64 s[8:9], s16, v38
	v_cmp_le_i32_e64 s[6:7], s48, v38
	s_and_b64 s[2:3], s[8:9], s[2:3]
	v_add3_u32 v0, v15, v9, v14
	v_lshlrev_b32_e32 v9, 1, v0
	buffer_load_dwordx4 v[27:30], v9, s[20:23], 0 offen
	s_and_b64 s[2:3], s[2:3], s[6:7]
	s_and_b64 s[2:3], vcc, s[2:3]
	buffer_store_dword v0, off, s[60:63], 0 offset:64 ; 4-byte Folded Spill
	s_waitcnt vmcnt(1)
	v_cndmask_b32_e64 v0, 0, v30, s[2:3]
	buffer_store_dword v0, off, s[60:63], 0 offset:60 ; 4-byte Folded Spill
	buffer_load_dword v0, off, s[60:63], 0  ; 4-byte Folded Reload
	s_nop 0
	buffer_load_dword v1, off, s[60:63], 0 offset:100 ; 4-byte Folded Reload
	v_cndmask_b32_e64 v30, 0, v29, s[2:3]
	v_cndmask_b32_e64 v29, 0, v28, s[2:3]
	;; [unrolled: 1-line block ×3, first 2 shown]
	v_cmp_gt_i32_e64 s[2:3], s52, v20
	s_and_b64 s[2:3], s[0:1], s[2:3]
	s_waitcnt vmcnt(0)
	v_add_u32_e32 v9, v1, v0
	buffer_load_dwordx4 v[39:42], v9, s[28:31], 0 offen
	s_waitcnt vmcnt(0)
	v_cndmask_b32_e64 v0, 0, v42, s[2:3]
	buffer_store_dword v0, off, s[60:63], 0 offset:24 ; 4-byte Folded Spill
	v_cndmask_b32_e64 v0, 0, v41, s[2:3]
	buffer_store_dword v0, off, s[60:63], 0 offset:28 ; 4-byte Folded Spill
	;; [unrolled: 2-line block ×4, first 2 shown]
	buffer_load_dword v0, off, s[60:63], 0 offset:80 ; 4-byte Folded Reload
	s_waitcnt vmcnt(0)
	v_add_u32_e32 v9, s56, v0
	buffer_load_dword v0, off, s[60:63], 0 offset:96 ; 4-byte Folded Reload
	buffer_load_dword v1, off, s[60:63], 0  ; 4-byte Folded Reload
	v_cmp_gt_i32_e64 s[2:3], s52, v9
	s_and_b64 s[2:3], s[0:1], s[2:3]
	s_add_i32 s56, s56, s18
	s_cmp_lt_i32 s57, s10
	s_waitcnt vmcnt(0)
	v_add_u32_e32 v39, v0, v1
	buffer_load_dwordx4 v[107:110], v39, s[28:31], 0 offen
	s_waitcnt vmcnt(0) lgkmcnt(0)
	s_barrier
	v_cndmask_b32_e64 v39, 0, v110, s[2:3]
	v_cndmask_b32_e64 v40, 0, v109, s[2:3]
	;; [unrolled: 1-line block ×4, first 2 shown]
	ds_read_b128 v[107:110], v25 offset:8192
	ds_read_b128 v[111:114], v24 offset:24576
	;; [unrolled: 1-line block ×5, first 2 shown]
	s_waitcnt lgkmcnt(3)
	v_dot2_f32_f16 v9, v107, v112, v16
	v_dot2_f32_f16 v14, v107, v113, v77
	;; [unrolled: 1-line block ×7, first 2 shown]
	s_waitcnt lgkmcnt(2)
	v_dot2_f32_f16 v85, v107, v115, v91
	v_dot2_f32_f16 v86, v107, v116, v92
	;; [unrolled: 1-line block ×6, first 2 shown]
	ds_read_b128 v[75:78], v25 offset:8704
	s_waitcnt lgkmcnt(2)
	v_dot2_f32_f16 v103, v120, v115, v47
	v_dot2_f32_f16 v104, v120, v118, v50
	ds_read_b128 v[43:46], v24 offset:25344
	ds_read_b128 v[47:50], v25 offset:8960
	v_dot2_f32_f16 v8, v107, v111, v8
	v_dot2_f32_f16 v21, v108, v113, v81
	;; [unrolled: 1-line block ×49, first 2 shown]
	s_waitcnt lgkmcnt(2)
	v_dot2_f32_f16 v8, v75, v59, v8
	v_dot2_f32_f16 v9, v75, v60, v9
	;; [unrolled: 1-line block ×16, first 2 shown]
	s_waitcnt lgkmcnt(1)
	v_dot2_f32_f16 v85, v75, v43, v85
	v_dot2_f32_f16 v86, v75, v44, v86
	;; [unrolled: 1-line block ×16, first 2 shown]
	ds_read_b128 v[51:54], v25 offset:9216
	ds_read_b128 v[55:58], v24 offset:25600
	s_waitcnt lgkmcnt(2)
	v_dot2_f32_f16 v97, v47, v59, v101
	v_dot2_f32_f16 v98, v47, v60, v102
	;; [unrolled: 1-line block ×32, first 2 shown]
	ds_read_b128 v[43:46], v24 offset:25856
	ds_read_b128 v[47:50], v25 offset:9472
	s_waitcnt lgkmcnt(2)
	v_dot2_f32_f16 v8, v51, v55, v8
	v_dot2_f32_f16 v9, v51, v56, v9
	;; [unrolled: 1-line block ×16, first 2 shown]
	s_waitcnt lgkmcnt(1)
	v_dot2_f32_f16 v85, v51, v43, v85
	v_dot2_f32_f16 v86, v51, v44, v86
	;; [unrolled: 1-line block ×16, first 2 shown]
	ds_read_b128 v[51:54], v25 offset:9728
	s_waitcnt lgkmcnt(1)
	v_dot2_f32_f16 v97, v47, v55, v97
	v_dot2_f32_f16 v98, v47, v56, v98
	;; [unrolled: 1-line block ×16, first 2 shown]
	ds_read_b128 v[55:58], v24 offset:26112
	v_dot2_f32_f16 v12, v47, v43, v12
	v_dot2_f32_f16 v18, v47, v44, v18
	;; [unrolled: 1-line block ×16, first 2 shown]
	ds_read_b128 v[43:46], v24 offset:26368
	ds_read_b128 v[47:50], v25 offset:9984
	s_waitcnt lgkmcnt(2)
	v_dot2_f32_f16 v8, v51, v55, v8
	v_dot2_f32_f16 v9, v51, v56, v9
	;; [unrolled: 1-line block ×16, first 2 shown]
	s_waitcnt lgkmcnt(1)
	v_dot2_f32_f16 v85, v51, v43, v85
	v_dot2_f32_f16 v86, v51, v44, v86
	;; [unrolled: 1-line block ×16, first 2 shown]
	ds_read_b128 v[51:54], v25 offset:10240
	s_waitcnt lgkmcnt(1)
	v_dot2_f32_f16 v97, v47, v55, v97
	v_dot2_f32_f16 v98, v47, v56, v98
	;; [unrolled: 1-line block ×16, first 2 shown]
	ds_read_b128 v[55:58], v24 offset:26624
	v_dot2_f32_f16 v12, v47, v43, v12
	v_dot2_f32_f16 v18, v47, v44, v18
	;; [unrolled: 1-line block ×16, first 2 shown]
	ds_read_b128 v[43:46], v24 offset:26880
	ds_read_b128 v[47:50], v25 offset:10496
	s_waitcnt lgkmcnt(2)
	v_dot2_f32_f16 v8, v51, v55, v8
	v_dot2_f32_f16 v9, v51, v56, v9
	;; [unrolled: 1-line block ×16, first 2 shown]
	s_waitcnt lgkmcnt(1)
	v_dot2_f32_f16 v85, v51, v43, v85
	v_dot2_f32_f16 v86, v51, v44, v86
	;; [unrolled: 1-line block ×16, first 2 shown]
	ds_read_b128 v[51:54], v25 offset:10752
	s_waitcnt lgkmcnt(1)
	v_dot2_f32_f16 v97, v47, v55, v97
	v_dot2_f32_f16 v98, v47, v56, v98
	;; [unrolled: 1-line block ×16, first 2 shown]
	ds_read_b128 v[55:58], v24 offset:27136
	v_dot2_f32_f16 v12, v47, v43, v12
	v_dot2_f32_f16 v18, v47, v44, v18
	;; [unrolled: 1-line block ×16, first 2 shown]
	ds_read_b128 v[43:46], v24 offset:27392
	ds_read_b128 v[47:50], v25 offset:11008
	s_waitcnt lgkmcnt(2)
	v_dot2_f32_f16 v8, v51, v55, v8
	v_dot2_f32_f16 v9, v51, v56, v9
	;; [unrolled: 1-line block ×16, first 2 shown]
	s_waitcnt lgkmcnt(1)
	v_dot2_f32_f16 v85, v51, v43, v85
	v_dot2_f32_f16 v86, v51, v44, v86
	;; [unrolled: 1-line block ×16, first 2 shown]
	ds_read_b128 v[51:54], v25 offset:11264
	s_waitcnt lgkmcnt(1)
	v_dot2_f32_f16 v97, v47, v55, v97
	v_dot2_f32_f16 v98, v47, v56, v98
	;; [unrolled: 1-line block ×16, first 2 shown]
	ds_read_b128 v[55:58], v24 offset:27648
	v_dot2_f32_f16 v12, v47, v43, v12
	v_dot2_f32_f16 v18, v47, v44, v18
	;; [unrolled: 1-line block ×16, first 2 shown]
	ds_read_b128 v[43:46], v24 offset:27904
	ds_read_b128 v[47:50], v25 offset:11520
	s_waitcnt lgkmcnt(2)
	v_dot2_f32_f16 v8, v51, v55, v8
	v_dot2_f32_f16 v9, v51, v56, v9
	;; [unrolled: 1-line block ×16, first 2 shown]
	s_waitcnt lgkmcnt(1)
	v_dot2_f32_f16 v85, v51, v43, v85
	v_dot2_f32_f16 v86, v51, v44, v86
	v_dot2_f32_f16 v87, v51, v45, v87
	v_dot2_f32_f16 v75, v51, v46, v75
	v_dot2_f32_f16 v88, v52, v43, v88
	v_dot2_f32_f16 v89, v52, v44, v89
	v_dot2_f32_f16 v90, v52, v45, v90
	v_dot2_f32_f16 v76, v52, v46, v76
	v_dot2_f32_f16 v91, v53, v43, v91
	v_dot2_f32_f16 v92, v53, v44, v92
	v_dot2_f32_f16 v93, v53, v45, v93
	v_dot2_f32_f16 v77, v53, v46, v77
	v_dot2_f32_f16 v94, v54, v43, v94
	v_dot2_f32_f16 v95, v54, v44, v95
	v_dot2_f32_f16 v96, v54, v45, v96
	v_dot2_f32_f16 v78, v54, v46, v78
	ds_read_b128 v[51:54], v25 offset:11776
	s_waitcnt lgkmcnt(1)
	v_dot2_f32_f16 v97, v47, v55, v97
	v_dot2_f32_f16 v98, v47, v56, v98
	;; [unrolled: 1-line block ×16, first 2 shown]
	ds_read_b128 v[55:58], v24 offset:28160
	v_dot2_f32_f16 v12, v47, v43, v12
	v_dot2_f32_f16 v18, v47, v44, v18
	;; [unrolled: 1-line block ×16, first 2 shown]
	ds_read_b128 v[43:46], v24 offset:28416
	ds_read_b128 v[47:50], v25 offset:12032
	s_waitcnt lgkmcnt(2)
	v_dot2_f32_f16 v8, v51, v55, v8
	v_dot2_f32_f16 v9, v51, v56, v9
	;; [unrolled: 1-line block ×16, first 2 shown]
	s_waitcnt lgkmcnt(1)
	v_dot2_f32_f16 v85, v51, v43, v85
	v_dot2_f32_f16 v86, v51, v44, v86
	;; [unrolled: 1-line block ×16, first 2 shown]
	ds_read_b128 v[51:54], v25 offset:12288
	s_waitcnt lgkmcnt(1)
	v_dot2_f32_f16 v97, v47, v55, v97
	v_dot2_f32_f16 v98, v47, v56, v98
	;; [unrolled: 1-line block ×16, first 2 shown]
	ds_read_b128 v[55:58], v24 offset:28672
	v_dot2_f32_f16 v12, v47, v43, v12
	v_dot2_f32_f16 v18, v47, v44, v18
	;; [unrolled: 1-line block ×16, first 2 shown]
	ds_read_b128 v[43:46], v24 offset:28928
	ds_read_b128 v[47:50], v25 offset:12544
	s_waitcnt lgkmcnt(2)
	v_dot2_f32_f16 v8, v51, v55, v8
	v_dot2_f32_f16 v9, v51, v56, v9
	;; [unrolled: 1-line block ×16, first 2 shown]
	s_waitcnt lgkmcnt(1)
	v_dot2_f32_f16 v85, v51, v43, v85
	v_dot2_f32_f16 v86, v51, v44, v86
	;; [unrolled: 1-line block ×16, first 2 shown]
	ds_read_b128 v[51:54], v25 offset:12800
	s_waitcnt lgkmcnt(1)
	v_dot2_f32_f16 v97, v47, v55, v97
	v_dot2_f32_f16 v98, v47, v56, v98
	;; [unrolled: 1-line block ×16, first 2 shown]
	ds_read_b128 v[55:58], v24 offset:29184
	v_dot2_f32_f16 v12, v47, v43, v12
	v_dot2_f32_f16 v18, v47, v44, v18
	;; [unrolled: 1-line block ×16, first 2 shown]
	ds_read_b128 v[43:46], v24 offset:29440
	ds_read_b128 v[47:50], v25 offset:13056
	s_waitcnt lgkmcnt(2)
	v_dot2_f32_f16 v8, v51, v55, v8
	v_dot2_f32_f16 v9, v51, v56, v9
	;; [unrolled: 1-line block ×16, first 2 shown]
	s_waitcnt lgkmcnt(1)
	v_dot2_f32_f16 v85, v51, v43, v85
	v_dot2_f32_f16 v86, v51, v44, v86
	;; [unrolled: 1-line block ×16, first 2 shown]
	ds_read_b128 v[51:54], v25 offset:13312
	s_waitcnt lgkmcnt(1)
	v_dot2_f32_f16 v97, v47, v55, v97
	v_dot2_f32_f16 v98, v47, v56, v98
	;; [unrolled: 1-line block ×16, first 2 shown]
	ds_read_b128 v[55:58], v24 offset:29696
	v_dot2_f32_f16 v12, v47, v43, v12
	v_dot2_f32_f16 v18, v47, v44, v18
	v_dot2_f32_f16 v6, v47, v45, v6
	v_dot2_f32_f16 v19, v47, v46, v19
	v_dot2_f32_f16 v71, v48, v43, v71
	v_dot2_f32_f16 v2, v48, v44, v2
	v_dot2_f32_f16 v3, v48, v45, v3
	v_dot2_f32_f16 v72, v48, v46, v72
	v_dot2_f32_f16 v73, v49, v43, v73
	v_dot2_f32_f16 v74, v49, v44, v74
	v_dot2_f32_f16 v99, v49, v45, v99
	v_dot2_f32_f16 v100, v49, v46, v100
	v_dot2_f32_f16 v101, v50, v43, v101
	v_dot2_f32_f16 v102, v50, v44, v102
	v_dot2_f32_f16 v103, v50, v45, v103
	v_dot2_f32_f16 v104, v50, v46, v104
	ds_read_b128 v[43:46], v24 offset:29952
	ds_read_b128 v[47:50], v25 offset:13568
	s_waitcnt lgkmcnt(2)
	v_dot2_f32_f16 v8, v51, v55, v8
	v_dot2_f32_f16 v9, v51, v56, v9
	;; [unrolled: 1-line block ×16, first 2 shown]
	s_waitcnt lgkmcnt(1)
	v_dot2_f32_f16 v85, v51, v43, v85
	v_dot2_f32_f16 v86, v51, v44, v86
	;; [unrolled: 1-line block ×16, first 2 shown]
	ds_read_b128 v[51:54], v25 offset:13824
	s_waitcnt lgkmcnt(1)
	v_dot2_f32_f16 v97, v47, v55, v97
	v_dot2_f32_f16 v98, v47, v56, v98
	;; [unrolled: 1-line block ×16, first 2 shown]
	ds_read_b128 v[55:58], v24 offset:30208
	v_dot2_f32_f16 v12, v47, v43, v12
	v_dot2_f32_f16 v18, v47, v44, v18
	;; [unrolled: 1-line block ×16, first 2 shown]
	ds_read_b128 v[43:46], v24 offset:30464
	ds_read_b128 v[47:50], v25 offset:14080
	s_waitcnt lgkmcnt(2)
	v_dot2_f32_f16 v8, v51, v55, v8
	v_dot2_f32_f16 v9, v51, v56, v9
	;; [unrolled: 1-line block ×16, first 2 shown]
	s_waitcnt lgkmcnt(1)
	v_dot2_f32_f16 v85, v51, v43, v85
	v_dot2_f32_f16 v86, v51, v44, v86
	;; [unrolled: 1-line block ×16, first 2 shown]
	ds_read_b128 v[51:54], v25 offset:14336
	s_waitcnt lgkmcnt(1)
	v_dot2_f32_f16 v97, v47, v55, v97
	v_dot2_f32_f16 v98, v47, v56, v98
	;; [unrolled: 1-line block ×16, first 2 shown]
	ds_read_b128 v[55:58], v24 offset:30720
	v_dot2_f32_f16 v12, v47, v43, v12
	v_dot2_f32_f16 v18, v47, v44, v18
	;; [unrolled: 1-line block ×16, first 2 shown]
	ds_read_b128 v[43:46], v24 offset:30976
	ds_read_b128 v[47:50], v25 offset:14592
	s_waitcnt lgkmcnt(2)
	v_dot2_f32_f16 v8, v51, v55, v8
	v_dot2_f32_f16 v9, v51, v56, v9
	;; [unrolled: 1-line block ×16, first 2 shown]
	s_waitcnt lgkmcnt(1)
	v_dot2_f32_f16 v85, v51, v43, v85
	v_dot2_f32_f16 v86, v51, v44, v86
	;; [unrolled: 1-line block ×16, first 2 shown]
	ds_read_b128 v[51:54], v25 offset:14848
	s_waitcnt lgkmcnt(1)
	v_dot2_f32_f16 v97, v47, v55, v97
	v_dot2_f32_f16 v98, v47, v56, v98
	;; [unrolled: 1-line block ×16, first 2 shown]
	ds_read_b128 v[55:58], v24 offset:31232
	v_dot2_f32_f16 v12, v47, v43, v12
	v_dot2_f32_f16 v18, v47, v44, v18
	;; [unrolled: 1-line block ×16, first 2 shown]
	ds_read_b128 v[43:46], v24 offset:31488
	ds_read_b128 v[47:50], v25 offset:15104
	s_waitcnt lgkmcnt(2)
	v_dot2_f32_f16 v8, v51, v55, v8
	v_dot2_f32_f16 v9, v51, v56, v9
	;; [unrolled: 1-line block ×16, first 2 shown]
	s_waitcnt lgkmcnt(1)
	v_dot2_f32_f16 v85, v51, v43, v85
	v_dot2_f32_f16 v86, v51, v44, v86
	;; [unrolled: 1-line block ×16, first 2 shown]
	ds_read_b128 v[51:54], v25 offset:15360
	s_waitcnt lgkmcnt(1)
	v_dot2_f32_f16 v97, v47, v55, v97
	v_dot2_f32_f16 v98, v47, v56, v98
	;; [unrolled: 1-line block ×16, first 2 shown]
	ds_read_b128 v[55:58], v24 offset:31744
	v_dot2_f32_f16 v12, v47, v43, v12
	v_dot2_f32_f16 v18, v47, v44, v18
	;; [unrolled: 1-line block ×16, first 2 shown]
	ds_read_b128 v[43:46], v24 offset:32000
	ds_read_b128 v[47:50], v25 offset:15616
	s_waitcnt lgkmcnt(2)
	v_dot2_f32_f16 v8, v51, v55, v8
	v_dot2_f32_f16 v9, v51, v56, v9
	;; [unrolled: 1-line block ×16, first 2 shown]
	s_waitcnt lgkmcnt(1)
	v_dot2_f32_f16 v85, v51, v43, v85
	v_dot2_f32_f16 v116, v51, v44, v86
	;; [unrolled: 1-line block ×16, first 2 shown]
	ds_read_b128 v[51:54], v25 offset:15872
	ds_read_b128 v[111:114], v25 offset:16128
	s_waitcnt lgkmcnt(2)
	v_dot2_f32_f16 v26, v49, v56, v68
	v_dot2_f32_f16 v35, v49, v57, v69
	;; [unrolled: 1-line block ×3, first 2 shown]
	ds_read_b128 v[68:71], v24 offset:32256
	ds_read_b128 v[107:110], v24 offset:32512
	v_dot2_f32_f16 v126, v47, v55, v97
	v_dot2_f32_f16 v17, v48, v55, v17
	;; [unrolled: 1-line block ×28, first 2 shown]
	s_waitcnt lgkmcnt(1)
	v_dot2_f32_f16 v106, v51, v68, v8
	v_dot2_f32_f16 v102, v52, v68, v16
	;; [unrolled: 1-line block ×8, first 2 shown]
	s_waitcnt lgkmcnt(0)
	v_dot2_f32_f16 v98, v51, v107, v85
	v_dot2_f32_f16 v95, v51, v109, v87
	v_dot2_f32_f16 v90, v52, v107, v117
	v_dot2_f32_f16 v89, v52, v108, v89
	v_dot2_f32_f16 v87, v52, v109, v118
	v_dot2_f32_f16 v85, v52, v110, v76
	v_dot2_f32_f16 v67, v111, v68, v126
	v_dot2_f32_f16 v63, v112, v68, v17
	v_dot2_f32_f16 v61, v112, v70, v34
	buffer_load_dword v34, off, s[60:63], 0 offset:64 ; 4-byte Folded Reload
	v_dot2_f32_f16 v60, v112, v71, v32
	buffer_load_dword v32, off, s[60:63], 0 offset:56 ; 4-byte Folded Reload
	v_dot2_f32_f16 v58, v113, v68, v64
	v_dot2_f32_f16 v52, v113, v71, v0
	buffer_load_dword v0, off, s[60:63], 0 offset:20 ; 4-byte Folded Reload
	v_dot2_f32_f16 v47, v114, v68, v55
	v_dot2_f32_f16 v55, v111, v109, v6
	buffer_load_dword v6, off, s[60:63], 0  ; 4-byte Folded Reload
	v_dot2_f32_f16 v50, v112, v108, v2
	buffer_load_dword v2, off, s[60:63], 0 offset:8 ; 4-byte Folded Reload
	v_dot2_f32_f16 v49, v112, v109, v3
	buffer_load_dword v3, off, s[60:63], 0 offset:12 ; 4-byte Folded Reload
	;; [unrolled: 2-line block ×3, first 2 shown]
	v_dot2_f32_f16 v22, v113, v109, v7
	v_dot2_f32_f16 v68, v114, v107, v5
	buffer_load_dword v5, off, s[60:63], 0 offset:48 ; 4-byte Folded Reload
	buffer_load_dword v7, off, s[60:63], 0 offset:52 ; 4-byte Folded Reload
	v_dot2_f32_f16 v48, v48, v46, v72
	v_mov_b32_e32 v24, v38
	v_dot2_f32_f16 v105, v51, v69, v9
	v_dot2_f32_f16 v104, v51, v70, v14
	;; [unrolled: 1-line block ×31, first 2 shown]
	v_mov_b32_e32 v31, v36
	v_dot2_f32_f16 v48, v112, v110, v48
	v_dot2_f32_f16 v46, v113, v107, v13
	v_dot2_f32_f16 v4, v113, v110, v4
	v_dot2_f32_f16 v69, v114, v108, v43
	v_dot2_f32_f16 v70, v114, v109, v44
	v_dot2_f32_f16 v71, v114, v110, v45
	s_waitcnt vmcnt(6)
	v_add_u32_e32 v0, s41, v0
	s_waitcnt vmcnt(5)
	v_add_u32_e32 v6, s37, v6
	;; [unrolled: 2-line block ×5, first 2 shown]
	s_waitcnt vmcnt(0)
	ds_write2st64_b32 v37, v7, v5 offset1:2
	buffer_load_dword v5, off, s[60:63], 0 offset:40 ; 4-byte Folded Reload
	buffer_load_dword v7, off, s[60:63], 0 offset:44 ; 4-byte Folded Reload
	s_waitcnt vmcnt(0)
	ds_write2st64_b32 v37, v7, v5 offset0:4 offset1:6
	ds_write2st64_b32 v37, v28, v29 offset0:8 offset1:10
	buffer_load_dword v5, off, s[60:63], 0 offset:60 ; 4-byte Folded Reload
	s_waitcnt vmcnt(0)
	ds_write2st64_b32 v37, v30, v5 offset0:12 offset1:14
	buffer_load_dword v5, off, s[60:63], 0 offset:32 ; 4-byte Folded Reload
	buffer_load_dword v7, off, s[60:63], 0 offset:36 ; 4-byte Folded Reload
	s_waitcnt vmcnt(0)
	ds_write2st64_b32 v37, v7, v5 offset0:64 offset1:66
	buffer_load_dword v5, off, s[60:63], 0 offset:24 ; 4-byte Folded Reload
	buffer_load_dword v7, off, s[60:63], 0 offset:28 ; 4-byte Folded Reload
	s_waitcnt vmcnt(0)
	ds_write2st64_b32 v37, v7, v5 offset0:68 offset1:70
	ds_write2st64_b32 v37, v42, v41 offset0:72 offset1:74
	;; [unrolled: 1-line block ×3, first 2 shown]
	s_cbranch_scc1 .LBB2_1
; %bb.2:
	s_waitcnt lgkmcnt(0)
	s_barrier
	buffer_load_dword v109, off, s[60:63], 0 offset:68 ; 4-byte Folded Reload
	buffer_load_dword v110, off, s[60:63], 0 offset:72 ; 4-byte Folded Reload
	s_mul_i32 s2, s26, s54
	s_mul_hi_u32 s3, s26, s53
	s_add_i32 s2, s3, s2
	s_mul_i32 s3, s27, s53
	s_add_i32 s3, s2, s3
	s_mul_i32 s2, s26, s53
	s_lshl_b64 s[2:3], s[2:3], 1
	s_load_dwordx2 s[0:1], s[4:5], 0x10
	s_add_u32 s8, s44, s2
	s_addc_u32 s6, s45, s3
	s_mul_i32 s2, s24, s54
	s_mul_hi_u32 s3, s24, s53
	s_add_i32 s2, s3, s2
	s_mul_i32 s3, s25, s53
	s_add_i32 s3, s2, s3
	s_mul_i32 s2, s24, s53
	s_lshl_b64 s[2:3], s[2:3], 1
	s_waitcnt lgkmcnt(0)
	s_add_u32 s12, s0, s2
	s_addc_u32 s0, s1, s3
	s_lshl_b32 s14, s40, 1
	s_and_b32 s13, s0, 0xffff
	s_lshl_b32 s7, s39, 6
	s_lshl_b32 s10, s36, 1
	s_and_b32 s9, s6, 0xffff
	s_waitcnt vmcnt(1)
	ds_read_b128 v[6:9], v109
	s_waitcnt vmcnt(0)
	ds_read_b128 v[10:13], v110 offset:16384
	ds_read_b128 v[14:17], v110 offset:16640
	;; [unrolled: 1-line block ×3, first 2 shown]
	s_waitcnt lgkmcnt(2)
	v_dot2_f32_f16 v0, v6, v10, v106
	v_dot2_f32_f16 v1, v6, v11, v105
	;; [unrolled: 1-line block ×16, first 2 shown]
	s_waitcnt lgkmcnt(1)
	v_dot2_f32_f16 v35, v6, v14, v98
	v_dot2_f32_f16 v36, v6, v15, v97
	;; [unrolled: 1-line block ×16, first 2 shown]
	ds_read_b128 v[6:9], v109 offset:512
	s_waitcnt lgkmcnt(1)
	v_dot2_f32_f16 v67, v18, v10, v67
	v_dot2_f32_f16 v66, v18, v11, v66
	;; [unrolled: 1-line block ×16, first 2 shown]
	ds_read_b128 v[10:13], v110 offset:16896
	v_dot2_f32_f16 v59, v18, v14, v59
	v_dot2_f32_f16 v57, v18, v15, v57
	;; [unrolled: 1-line block ×16, first 2 shown]
	ds_read_b128 v[14:17], v110 offset:17152
	ds_read_b128 v[18:21], v109 offset:768
	s_waitcnt lgkmcnt(2)
	v_dot2_f32_f16 v0, v6, v10, v0
	v_dot2_f32_f16 v1, v6, v11, v1
	;; [unrolled: 1-line block ×16, first 2 shown]
	s_waitcnt lgkmcnt(1)
	v_dot2_f32_f16 v35, v6, v14, v35
	v_dot2_f32_f16 v36, v6, v15, v36
	;; [unrolled: 1-line block ×16, first 2 shown]
	ds_read_b128 v[6:9], v109 offset:1024
	s_waitcnt lgkmcnt(1)
	v_dot2_f32_f16 v67, v18, v10, v67
	v_dot2_f32_f16 v66, v18, v11, v66
	;; [unrolled: 1-line block ×16, first 2 shown]
	ds_read_b128 v[10:13], v110 offset:17408
	v_dot2_f32_f16 v59, v18, v14, v59
	v_dot2_f32_f16 v57, v18, v15, v57
	;; [unrolled: 1-line block ×16, first 2 shown]
	ds_read_b128 v[14:17], v110 offset:17664
	ds_read_b128 v[18:21], v109 offset:1280
	s_waitcnt lgkmcnt(2)
	v_dot2_f32_f16 v0, v6, v10, v0
	v_dot2_f32_f16 v1, v6, v11, v1
	;; [unrolled: 1-line block ×16, first 2 shown]
	s_waitcnt lgkmcnt(1)
	v_dot2_f32_f16 v35, v6, v14, v35
	v_dot2_f32_f16 v36, v6, v15, v36
	;; [unrolled: 1-line block ×16, first 2 shown]
	ds_read_b128 v[6:9], v109 offset:1536
	s_waitcnt lgkmcnt(1)
	v_dot2_f32_f16 v67, v18, v10, v67
	v_dot2_f32_f16 v66, v18, v11, v66
	v_dot2_f32_f16 v65, v18, v12, v65
	v_dot2_f32_f16 v64, v18, v13, v64
	v_dot2_f32_f16 v63, v19, v10, v63
	v_dot2_f32_f16 v62, v19, v11, v62
	v_dot2_f32_f16 v61, v19, v12, v61
	v_dot2_f32_f16 v60, v19, v13, v60
	v_dot2_f32_f16 v58, v20, v10, v58
	v_dot2_f32_f16 v56, v20, v11, v56
	v_dot2_f32_f16 v54, v20, v12, v54
	v_dot2_f32_f16 v52, v20, v13, v52
	v_dot2_f32_f16 v47, v21, v10, v47
	v_dot2_f32_f16 v77, v21, v11, v77
	v_dot2_f32_f16 v78, v21, v12, v78
	v_dot2_f32_f16 v79, v21, v13, v79
	ds_read_b128 v[10:13], v110 offset:17920
	v_dot2_f32_f16 v59, v18, v14, v59
	v_dot2_f32_f16 v57, v18, v15, v57
	;; [unrolled: 1-line block ×16, first 2 shown]
	ds_read_b128 v[14:17], v110 offset:18176
	ds_read_b128 v[18:21], v109 offset:1792
	s_waitcnt lgkmcnt(2)
	v_dot2_f32_f16 v0, v6, v10, v0
	v_dot2_f32_f16 v1, v6, v11, v1
	;; [unrolled: 1-line block ×16, first 2 shown]
	s_waitcnt lgkmcnt(1)
	v_dot2_f32_f16 v35, v6, v14, v35
	v_dot2_f32_f16 v36, v6, v15, v36
	v_dot2_f32_f16 v37, v6, v16, v37
	v_dot2_f32_f16 v38, v6, v17, v38
	v_dot2_f32_f16 v39, v7, v14, v39
	v_dot2_f32_f16 v40, v7, v15, v40
	v_dot2_f32_f16 v41, v7, v16, v41
	v_dot2_f32_f16 v42, v7, v17, v42
	v_dot2_f32_f16 v43, v8, v14, v43
	v_dot2_f32_f16 v44, v8, v15, v44
	v_dot2_f32_f16 v45, v8, v16, v45
	v_dot2_f32_f16 v76, v8, v17, v76
	v_dot2_f32_f16 v75, v9, v14, v75
	v_dot2_f32_f16 v74, v9, v15, v74
	v_dot2_f32_f16 v73, v9, v16, v73
	v_dot2_f32_f16 v72, v9, v17, v72
	ds_read_b128 v[6:9], v109 offset:2048
	s_waitcnt lgkmcnt(1)
	v_dot2_f32_f16 v67, v18, v10, v67
	v_dot2_f32_f16 v66, v18, v11, v66
	;; [unrolled: 1-line block ×16, first 2 shown]
	ds_read_b128 v[10:13], v110 offset:18432
	v_dot2_f32_f16 v59, v18, v14, v59
	v_dot2_f32_f16 v57, v18, v15, v57
	;; [unrolled: 1-line block ×16, first 2 shown]
	ds_read_b128 v[14:17], v110 offset:18688
	ds_read_b128 v[18:21], v109 offset:2304
	s_waitcnt lgkmcnt(2)
	v_dot2_f32_f16 v0, v6, v10, v0
	v_dot2_f32_f16 v1, v6, v11, v1
	;; [unrolled: 1-line block ×16, first 2 shown]
	s_waitcnt lgkmcnt(1)
	v_dot2_f32_f16 v35, v6, v14, v35
	v_dot2_f32_f16 v36, v6, v15, v36
	;; [unrolled: 1-line block ×16, first 2 shown]
	ds_read_b128 v[6:9], v109 offset:2560
	s_waitcnt lgkmcnt(1)
	v_dot2_f32_f16 v67, v18, v10, v67
	v_dot2_f32_f16 v66, v18, v11, v66
	;; [unrolled: 1-line block ×16, first 2 shown]
	ds_read_b128 v[10:13], v110 offset:18944
	v_dot2_f32_f16 v59, v18, v14, v59
	v_dot2_f32_f16 v57, v18, v15, v57
	;; [unrolled: 1-line block ×16, first 2 shown]
	ds_read_b128 v[14:17], v110 offset:19200
	ds_read_b128 v[18:21], v109 offset:2816
	s_waitcnt lgkmcnt(2)
	v_dot2_f32_f16 v0, v6, v10, v0
	v_dot2_f32_f16 v1, v6, v11, v1
	v_dot2_f32_f16 v2, v6, v12, v2
	v_dot2_f32_f16 v3, v6, v13, v3
	v_dot2_f32_f16 v5, v7, v10, v5
	v_dot2_f32_f16 v24, v7, v11, v24
	v_dot2_f32_f16 v25, v7, v12, v25
	v_dot2_f32_f16 v26, v7, v13, v26
	v_dot2_f32_f16 v27, v8, v10, v27
	v_dot2_f32_f16 v28, v8, v11, v28
	v_dot2_f32_f16 v29, v8, v12, v29
	v_dot2_f32_f16 v30, v8, v13, v30
	v_dot2_f32_f16 v31, v9, v10, v31
	v_dot2_f32_f16 v32, v9, v11, v32
	v_dot2_f32_f16 v33, v9, v12, v33
	v_dot2_f32_f16 v34, v9, v13, v34
	s_waitcnt lgkmcnt(1)
	v_dot2_f32_f16 v35, v6, v14, v35
	v_dot2_f32_f16 v36, v6, v15, v36
	;; [unrolled: 1-line block ×16, first 2 shown]
	ds_read_b128 v[6:9], v109 offset:3072
	s_waitcnt lgkmcnt(1)
	v_dot2_f32_f16 v67, v18, v10, v67
	v_dot2_f32_f16 v66, v18, v11, v66
	v_dot2_f32_f16 v65, v18, v12, v65
	v_dot2_f32_f16 v64, v18, v13, v64
	v_dot2_f32_f16 v63, v19, v10, v63
	v_dot2_f32_f16 v62, v19, v11, v62
	v_dot2_f32_f16 v61, v19, v12, v61
	v_dot2_f32_f16 v60, v19, v13, v60
	v_dot2_f32_f16 v58, v20, v10, v58
	v_dot2_f32_f16 v56, v20, v11, v56
	v_dot2_f32_f16 v54, v20, v12, v54
	v_dot2_f32_f16 v52, v20, v13, v52
	v_dot2_f32_f16 v47, v21, v10, v47
	v_dot2_f32_f16 v77, v21, v11, v77
	v_dot2_f32_f16 v78, v21, v12, v78
	v_dot2_f32_f16 v79, v21, v13, v79
	ds_read_b128 v[10:13], v110 offset:19456
	v_dot2_f32_f16 v59, v18, v14, v59
	v_dot2_f32_f16 v57, v18, v15, v57
	;; [unrolled: 1-line block ×16, first 2 shown]
	ds_read_b128 v[14:17], v110 offset:19712
	ds_read_b128 v[18:21], v109 offset:3328
	s_waitcnt lgkmcnt(2)
	v_dot2_f32_f16 v0, v6, v10, v0
	v_dot2_f32_f16 v1, v6, v11, v1
	;; [unrolled: 1-line block ×16, first 2 shown]
	s_waitcnt lgkmcnt(1)
	v_dot2_f32_f16 v35, v6, v14, v35
	v_dot2_f32_f16 v36, v6, v15, v36
	;; [unrolled: 1-line block ×16, first 2 shown]
	ds_read_b128 v[6:9], v109 offset:3584
	s_waitcnt lgkmcnt(1)
	v_dot2_f32_f16 v67, v18, v10, v67
	v_dot2_f32_f16 v66, v18, v11, v66
	;; [unrolled: 1-line block ×16, first 2 shown]
	ds_read_b128 v[10:13], v110 offset:19968
	v_dot2_f32_f16 v59, v18, v14, v59
	v_dot2_f32_f16 v57, v18, v15, v57
	;; [unrolled: 1-line block ×16, first 2 shown]
	ds_read_b128 v[14:17], v110 offset:20224
	ds_read_b128 v[18:21], v109 offset:3840
	s_waitcnt lgkmcnt(2)
	v_dot2_f32_f16 v0, v6, v10, v0
	v_dot2_f32_f16 v1, v6, v11, v1
	;; [unrolled: 1-line block ×16, first 2 shown]
	s_waitcnt lgkmcnt(1)
	v_dot2_f32_f16 v35, v6, v14, v35
	v_dot2_f32_f16 v36, v6, v15, v36
	;; [unrolled: 1-line block ×16, first 2 shown]
	ds_read_b128 v[6:9], v109 offset:4096
	s_waitcnt lgkmcnt(1)
	v_dot2_f32_f16 v67, v18, v10, v67
	v_dot2_f32_f16 v66, v18, v11, v66
	;; [unrolled: 1-line block ×16, first 2 shown]
	ds_read_b128 v[10:13], v110 offset:20480
	v_dot2_f32_f16 v59, v18, v14, v59
	v_dot2_f32_f16 v57, v18, v15, v57
	;; [unrolled: 1-line block ×16, first 2 shown]
	ds_read_b128 v[14:17], v110 offset:20736
	ds_read_b128 v[18:21], v109 offset:4352
	s_waitcnt lgkmcnt(2)
	v_dot2_f32_f16 v0, v6, v10, v0
	v_dot2_f32_f16 v1, v6, v11, v1
	;; [unrolled: 1-line block ×16, first 2 shown]
	s_waitcnt lgkmcnt(1)
	v_dot2_f32_f16 v35, v6, v14, v35
	v_dot2_f32_f16 v36, v6, v15, v36
	;; [unrolled: 1-line block ×16, first 2 shown]
	ds_read_b128 v[6:9], v109 offset:4608
	s_waitcnt lgkmcnt(1)
	v_dot2_f32_f16 v67, v18, v10, v67
	v_dot2_f32_f16 v66, v18, v11, v66
	;; [unrolled: 1-line block ×16, first 2 shown]
	ds_read_b128 v[10:13], v110 offset:20992
	v_dot2_f32_f16 v59, v18, v14, v59
	v_dot2_f32_f16 v57, v18, v15, v57
	;; [unrolled: 1-line block ×16, first 2 shown]
	ds_read_b128 v[14:17], v110 offset:21248
	ds_read_b128 v[18:21], v109 offset:4864
	s_waitcnt lgkmcnt(2)
	v_dot2_f32_f16 v0, v6, v10, v0
	v_dot2_f32_f16 v1, v6, v11, v1
	;; [unrolled: 1-line block ×16, first 2 shown]
	s_waitcnt lgkmcnt(1)
	v_dot2_f32_f16 v35, v6, v14, v35
	v_dot2_f32_f16 v36, v6, v15, v36
	;; [unrolled: 1-line block ×16, first 2 shown]
	ds_read_b128 v[6:9], v109 offset:5120
	s_waitcnt lgkmcnt(1)
	v_dot2_f32_f16 v67, v18, v10, v67
	v_dot2_f32_f16 v66, v18, v11, v66
	;; [unrolled: 1-line block ×16, first 2 shown]
	ds_read_b128 v[10:13], v110 offset:21504
	v_dot2_f32_f16 v59, v18, v14, v59
	v_dot2_f32_f16 v57, v18, v15, v57
	;; [unrolled: 1-line block ×16, first 2 shown]
	ds_read_b128 v[14:17], v110 offset:21760
	ds_read_b128 v[18:21], v109 offset:5376
	s_waitcnt lgkmcnt(2)
	v_dot2_f32_f16 v0, v6, v10, v0
	v_dot2_f32_f16 v1, v6, v11, v1
	;; [unrolled: 1-line block ×16, first 2 shown]
	s_waitcnt lgkmcnt(1)
	v_dot2_f32_f16 v35, v6, v14, v35
	v_dot2_f32_f16 v36, v6, v15, v36
	;; [unrolled: 1-line block ×16, first 2 shown]
	ds_read_b128 v[6:9], v109 offset:5632
	s_waitcnt lgkmcnt(1)
	v_dot2_f32_f16 v67, v18, v10, v67
	v_dot2_f32_f16 v66, v18, v11, v66
	;; [unrolled: 1-line block ×16, first 2 shown]
	ds_read_b128 v[10:13], v110 offset:22016
	v_dot2_f32_f16 v59, v18, v14, v59
	v_dot2_f32_f16 v57, v18, v15, v57
	v_dot2_f32_f16 v55, v18, v16, v55
	v_dot2_f32_f16 v53, v18, v17, v53
	v_dot2_f32_f16 v51, v19, v14, v51
	v_dot2_f32_f16 v50, v19, v15, v50
	v_dot2_f32_f16 v49, v19, v16, v49
	v_dot2_f32_f16 v48, v19, v17, v48
	v_dot2_f32_f16 v46, v20, v14, v46
	v_dot2_f32_f16 v23, v20, v15, v23
	v_dot2_f32_f16 v22, v20, v16, v22
	v_dot2_f32_f16 v4, v20, v17, v4
	v_dot2_f32_f16 v68, v21, v14, v68
	v_dot2_f32_f16 v69, v21, v15, v69
	v_dot2_f32_f16 v70, v21, v16, v70
	v_dot2_f32_f16 v71, v21, v17, v71
	ds_read_b128 v[14:17], v110 offset:22272
	ds_read_b128 v[18:21], v109 offset:5888
	s_waitcnt lgkmcnt(2)
	v_dot2_f32_f16 v0, v6, v10, v0
	v_dot2_f32_f16 v1, v6, v11, v1
	;; [unrolled: 1-line block ×16, first 2 shown]
	s_waitcnt lgkmcnt(1)
	v_dot2_f32_f16 v35, v6, v14, v35
	v_dot2_f32_f16 v36, v6, v15, v36
	;; [unrolled: 1-line block ×16, first 2 shown]
	ds_read_b128 v[6:9], v109 offset:6144
	s_waitcnt lgkmcnt(1)
	v_dot2_f32_f16 v67, v18, v10, v67
	v_dot2_f32_f16 v66, v18, v11, v66
	;; [unrolled: 1-line block ×16, first 2 shown]
	ds_read_b128 v[10:13], v110 offset:22528
	v_dot2_f32_f16 v59, v18, v14, v59
	v_dot2_f32_f16 v57, v18, v15, v57
	;; [unrolled: 1-line block ×16, first 2 shown]
	ds_read_b128 v[14:17], v110 offset:22784
	ds_read_b128 v[18:21], v109 offset:6400
	s_waitcnt lgkmcnt(2)
	v_dot2_f32_f16 v0, v6, v10, v0
	v_dot2_f32_f16 v1, v6, v11, v1
	;; [unrolled: 1-line block ×16, first 2 shown]
	s_waitcnt lgkmcnt(1)
	v_dot2_f32_f16 v35, v6, v14, v35
	v_dot2_f32_f16 v36, v6, v15, v36
	;; [unrolled: 1-line block ×16, first 2 shown]
	ds_read_b128 v[6:9], v109 offset:6656
	s_waitcnt lgkmcnt(1)
	v_dot2_f32_f16 v67, v18, v10, v67
	v_dot2_f32_f16 v66, v18, v11, v66
	;; [unrolled: 1-line block ×16, first 2 shown]
	ds_read_b128 v[10:13], v110 offset:23040
	v_dot2_f32_f16 v59, v18, v14, v59
	v_dot2_f32_f16 v57, v18, v15, v57
	;; [unrolled: 1-line block ×16, first 2 shown]
	ds_read_b128 v[14:17], v110 offset:23296
	ds_read_b128 v[18:21], v109 offset:6912
	s_waitcnt lgkmcnt(2)
	v_dot2_f32_f16 v0, v6, v10, v0
	v_dot2_f32_f16 v1, v6, v11, v1
	;; [unrolled: 1-line block ×16, first 2 shown]
	s_waitcnt lgkmcnt(1)
	v_dot2_f32_f16 v35, v6, v14, v35
	v_dot2_f32_f16 v36, v6, v15, v36
	;; [unrolled: 1-line block ×16, first 2 shown]
	ds_read_b128 v[6:9], v109 offset:7168
	s_waitcnt lgkmcnt(1)
	v_dot2_f32_f16 v67, v18, v10, v67
	v_dot2_f32_f16 v66, v18, v11, v66
	;; [unrolled: 1-line block ×16, first 2 shown]
	ds_read_b128 v[10:13], v110 offset:23552
	v_dot2_f32_f16 v59, v18, v14, v59
	v_dot2_f32_f16 v57, v18, v15, v57
	;; [unrolled: 1-line block ×16, first 2 shown]
	ds_read_b128 v[14:17], v110 offset:23808
	ds_read_b128 v[18:21], v109 offset:7424
	s_waitcnt lgkmcnt(2)
	v_dot2_f32_f16 v0, v6, v10, v0
	v_dot2_f32_f16 v1, v6, v11, v1
	;; [unrolled: 1-line block ×16, first 2 shown]
	s_waitcnt lgkmcnt(1)
	v_dot2_f32_f16 v35, v6, v14, v35
	v_dot2_f32_f16 v83, v6, v15, v36
	v_dot2_f32_f16 v37, v6, v16, v37
	v_dot2_f32_f16 v84, v6, v17, v38
	v_dot2_f32_f16 v85, v7, v14, v39
	v_dot2_f32_f16 v86, v7, v15, v40
	v_dot2_f32_f16 v87, v7, v16, v41
	v_dot2_f32_f16 v42, v7, v17, v42
	v_dot2_f32_f16 v43, v8, v14, v43
	v_dot2_f32_f16 v88, v8, v15, v44
	v_dot2_f32_f16 v89, v8, v16, v45
	v_dot2_f32_f16 v76, v8, v17, v76
	v_dot2_f32_f16 v75, v9, v14, v75
	v_dot2_f32_f16 v74, v9, v15, v74
	v_dot2_f32_f16 v73, v9, v16, v73
	v_dot2_f32_f16 v72, v9, v17, v72
	ds_read_b128 v[6:9], v109 offset:7680
	s_waitcnt lgkmcnt(1)
	v_dot2_f32_f16 v96, v21, v10, v47
	ds_read_b128 v[44:47], v110 offset:24064
	v_dot2_f32_f16 v90, v18, v13, v64
	v_dot2_f32_f16 v91, v19, v10, v63
	;; [unrolled: 1-line block ×10, first 2 shown]
	ds_read_b128 v[52:55], v110 offset:24320
	ds_read_b128 v[61:64], v109 offset:7936
	s_waitcnt lgkmcnt(2)
	v_dot2_f32_f16 v109, v6, v44, v0
	buffer_load_dword v0, off, s[60:63], 0 offset:132 ; 4-byte Folded Reload
	v_dot2_f32_f16 v110, v6, v45, v1
	buffer_load_dword v1, off, s[60:63], 0 offset:128 ; 4-byte Folded Reload
	v_dot2_f32_f16 v65, v18, v12, v65
	v_dot2_f32_f16 v58, v20, v10, v58
	;; [unrolled: 1-line block ×18, first 2 shown]
	s_waitcnt lgkmcnt(1)
	v_dot2_f32_f16 v114, v6, v53, v83
	v_dot2_f32_f16 v59, v18, v14, v59
	;; [unrolled: 1-line block ×3, first 2 shown]
	s_waitcnt lgkmcnt(0)
	v_dot2_f32_f16 v14, v64, v46, v12
	v_dot2_f32_f16 v39, v6, v55, v84
	;; [unrolled: 1-line block ×55, first 2 shown]
	s_waitcnt vmcnt(1)
	v_lshl_or_b32 v31, s15, 7, v0
	v_mul_lo_u32 v0, v31, s38
	s_waitcnt vmcnt(0)
	v_lshl_add_u32 v34, s43, 7, v1
	s_mov_b32 s15, 0x20000
	v_cmp_gt_i32_e32 vcc, s42, v34
	v_mad_u64_u32 v[0:1], s[2:3], v34, s39, v[0:1]
	v_cmp_gt_i32_e64 s[2:3], s19, v31
	s_and_b64 s[0:1], s[2:3], vcc
	v_lshlrev_b32_e32 v1, 1, v0
	buffer_load_dwordx2 v[20:21], v1, s[12:15], 0 offen
	v_add_lshl_u32 v1, v0, s7, 1
	buffer_load_dwordx2 v[48:49], v1, s[12:15], 0 offen
	v_add_u32_e32 v2, s38, v0
	v_lshlrev_b32_e32 v0, 1, v2
	buffer_load_dwordx2 v[70:71], v0, s[12:15], 0 offen
	v_add_lshl_u32 v0, v2, s7, 1
	buffer_load_dwordx2 v[77:78], v0, s[12:15], 0 offen
	v_dot2_f32_f16 v0, v61, v46, v65
	v_add_u32_e32 v65, s38, v2
	v_lshlrev_b32_e32 v2, 1, v65
	buffer_load_dwordx2 v[82:83], v2, s[12:15], 0 offen
	v_add_lshl_u32 v12, v65, s7, 1
	buffer_load_dwordx2 v[84:85], v12, s[12:15], 0 offen
	v_add_u32_e32 v45, s38, v65
	v_dot2_f32_f16 v1, v61, v47, v90
	v_lshlrev_b32_e32 v47, 1, v45
	buffer_load_dwordx2 v[86:87], v47, s[12:15], 0 offen
	v_add_lshl_u32 v53, v45, s7, 1
	buffer_load_dwordx2 v[88:89], v53, s[12:15], 0 offen
	v_dot2_f32_f16 v46, v62, v52, v99
	v_dot2_f32_f16 v12, v63, v54, v104
	v_or_b32_e32 v59, 1, v31
	v_dot2_f32_f16 v2, v61, v54, v79
	s_mov_b32 s11, s15
	s_waitcnt vmcnt(7)
	v_cndmask_b32_e64 v73, 0, v21, s[0:1]
	v_cndmask_b32_e64 v21, 0, v20, s[0:1]
	v_cvt_f32_f16_e32 v47, v21
	v_cvt_f32_f16_sdwa v52, v21 dst_sel:DWORD dst_unused:UNUSED_PAD src0_sel:WORD_1
	v_dot2_f32_f16 v21, v64, v55, v108
	v_dot2_f32_f16 v20, v64, v54, v107
	v_add_f32_e32 v47, v109, v47
	v_max_f32_e32 v75, 0, v47
	v_add_f32_e32 v47, v110, v52
	v_add_u32_e32 v52, 64, v34
	v_cmp_gt_i32_e64 s[0:1], s42, v52
	s_and_b64 s[2:3], s[2:3], s[0:1]
	s_waitcnt vmcnt(6)
	v_cndmask_b32_e64 v63, 0, v49, s[2:3]
	v_cndmask_b32_e64 v49, 0, v48, s[2:3]
	v_cvt_f32_f16_e32 v53, v49
	v_max_f32_e32 v80, 0, v47
	v_mad_u64_u32 v[47:48], s[2:3], s38, 61, v[45:46]
	v_add_f32_e32 v45, v81, v53
	v_cvt_f32_f16_sdwa v53, v49 dst_sel:DWORD dst_unused:UNUSED_PAD src0_sel:WORD_1
	v_max_f32_e32 v74, 0, v45
	v_lshlrev_b32_e32 v45, 1, v47
	buffer_load_dwordx2 v[48:49], v45, s[12:15], 0 offen
	v_cmp_gt_i32_e64 s[2:3], s19, v59
	s_and_b64 s[4:5], s[2:3], vcc
	v_add_lshl_u32 v57, v47, s7, 1
	buffer_load_dwordx2 v[90:91], v57, s[12:15], 0 offen
	v_add_f32_e32 v45, v114, v53
	s_waitcnt vmcnt(7)
	v_cndmask_b32_e64 v53, 0, v70, s[4:5]
	v_cvt_f32_f16_e32 v55, v53
	v_max_f32_e32 v81, 0, v45
	s_and_b64 s[2:3], s[2:3], s[0:1]
	v_add_u32_e32 v47, s38, v47
	v_add_f32_e32 v45, v111, v55
	v_max_f32_e32 v62, 0, v45
	v_cvt_f32_f16_sdwa v45, v53 dst_sel:DWORD dst_unused:UNUSED_PAD src0_sel:WORD_1
	s_waitcnt vmcnt(6)
	v_cndmask_b32_e64 v53, 0, v77, s[2:3]
	v_cvt_f32_f16_e32 v55, v53
	v_lshlrev_b32_e32 v57, 1, v47
	buffer_load_dwordx2 v[92:93], v57, s[12:15], 0 offen
	v_add_f32_e32 v45, v112, v45
	v_max_f32_e32 v72, 0, v45
	v_add_f32_e32 v45, v115, v55
	v_cvt_f32_f16_sdwa v53, v53 dst_sel:DWORD dst_unused:UNUSED_PAD src0_sel:WORD_1
	v_or_b32_e32 v55, 2, v31
	v_cndmask_b32_e64 v76, 0, v78, s[2:3]
	v_cmp_gt_i32_e64 s[2:3], s19, v55
	v_add_lshl_u32 v57, v47, s7, 1
	v_cndmask_b32_e64 v54, 0, v71, s[4:5]
	buffer_load_dwordx2 v[94:95], v57, s[12:15], 0 offen
	s_and_b64 s[4:5], s[2:3], vcc
	s_waitcnt vmcnt(7)
	v_cndmask_b32_e64 v57, 0, v82, s[4:5]
	v_max_f32_e32 v98, 0, v45
	v_add_f32_e32 v45, v116, v53
	v_cvt_f32_f16_sdwa v53, v57 dst_sel:DWORD dst_unused:UNUSED_PAD src0_sel:WORD_1
	v_cvt_f32_f16_e32 v61, v57
	v_add_u32_e32 v47, s38, v47
	v_max_f32_e32 v99, 0, v45
	v_add_f32_e32 v36, v36, v53
	v_add_f32_e32 v45, v113, v61
	v_lshlrev_b32_e32 v57, 1, v47
	s_and_b64 s[2:3], s[2:3], s[0:1]
	v_max_f32_e32 v79, 0, v36
	v_add_lshl_u32 v36, v47, s7, 1
	v_cndmask_b32_e64 v67, 0, v83, s[4:5]
	buffer_load_dwordx2 v[96:97], v57, s[12:15], 0 offen
	v_max_f32_e32 v78, 0, v45
	s_waitcnt vmcnt(7)
	v_cndmask_b32_e64 v45, 0, v84, s[2:3]
	buffer_load_dwordx2 v[83:84], v36, s[12:15], 0 offen
	v_or_b32_e32 v57, 3, v31
	v_cndmask_b32_e64 v65, 0, v85, s[2:3]
	v_cmp_gt_i32_e64 s[2:3], s19, v57
	v_add_u32_e32 v47, s38, v47
	s_and_b64 s[4:5], s[2:3], vcc
	v_lshlrev_b32_e32 v70, 1, v47
	v_cvt_f32_f16_e32 v53, v45
	s_waitcnt vmcnt(7)
	v_cndmask_b32_e64 v61, 0, v86, s[4:5]
	buffer_load_dwordx2 v[85:86], v70, s[12:15], 0 offen
	v_cvt_f32_f16_sdwa v45, v45 dst_sel:DWORD dst_unused:UNUSED_PAD src0_sel:WORD_1
	v_add_f32_e32 v36, v117, v53
	s_and_b64 s[2:3], s[2:3], s[0:1]
	v_add_lshl_u32 v47, v47, s7, 1
	v_cndmask_b32_e64 v53, 0, v87, s[4:5]
	v_max_f32_e32 v82, 0, v36
	v_add_f32_e32 v36, v118, v45
	s_waitcnt vmcnt(7)
	v_cndmask_b32_e64 v45, 0, v88, s[2:3]
	buffer_load_dwordx2 v[87:88], v47, s[12:15], 0 offen
	v_max_f32_e32 v100, 0, v36
	v_cvt_f32_f16_sdwa v36, v61 dst_sel:DWORD dst_unused:UNUSED_PAD src0_sel:WORD_1
	v_cvt_f32_f16_e32 v47, v45
	v_cndmask_b32_e64 v77, 0, v89, s[2:3]
	v_cvt_f32_f16_e32 v64, v61
	v_add_f32_e32 v26, v26, v36
	v_max_f32_e32 v71, 0, v26
	v_or_b32_e32 v26, 64, v31
	v_cmp_gt_i32_e64 s[2:3], s19, v26
	s_and_b64 s[4:5], s[2:3], vcc
	v_cvt_f32_f16_sdwa v36, v45 dst_sel:DWORD dst_unused:UNUSED_PAD src0_sel:WORD_1
	v_add_f32_e32 v35, v35, v47
	s_and_b64 s[2:3], s[2:3], s[0:1]
	v_add_f32_e32 v27, v27, v64
	v_add_f32_e32 v28, v28, v36
	s_waitcnt vmcnt(7)
	v_cndmask_b32_e64 v45, 0, v48, s[4:5]
	v_cvt_f32_f16_e32 v47, v45
	v_max_f32_e32 v101, 0, v28
	v_max_f32_e32 v89, 0, v35
	s_waitcnt vmcnt(6)
	v_cndmask_b32_e64 v35, 0, v91, s[2:3]
	v_add_f32_e32 v28, v29, v47
	v_cvt_f32_f16_sdwa v29, v45 dst_sel:DWORD dst_unused:UNUSED_PAD src0_sel:WORD_1
	v_cndmask_b32_e64 v36, 0, v90, s[2:3]
	v_max_f32_e32 v70, 0, v27
	v_cndmask_b32_e64 v27, 0, v49, s[4:5]
	v_add_f32_e32 v29, v30, v29
	v_add_u32_e32 v30, 0x41, v31
	v_cmp_gt_i32_e64 s[2:3], s19, v30
	s_and_b64 s[4:5], s[2:3], vcc
	v_cvt_f32_f16_e32 v45, v36
	v_cvt_f32_f16_sdwa v48, v36 dst_sel:DWORD dst_unused:UNUSED_PAD src0_sel:WORD_1
	s_and_b64 s[2:3], s[2:3], s[0:1]
	s_waitcnt vmcnt(5)
	v_cndmask_b32_e64 v49, 0, v92, s[4:5]
	v_cvt_f32_f16_e32 v61, v49
	v_add_f32_e32 v47, v119, v45
	v_add_f32_e32 v37, v37, v48
	v_cvt_f32_f16_sdwa v48, v49 dst_sel:DWORD dst_unused:UNUSED_PAD src0_sel:WORD_1
	v_max_f32_e32 v36, 0, v47
	v_add_f32_e32 v47, v42, v61
	v_cndmask_b32_e64 v45, 0, v93, s[4:5]
	v_add_f32_e32 v43, v43, v48
	v_max_f32_e32 v48, 0, v43
	s_waitcnt vmcnt(4)
	v_cndmask_b32_e64 v49, 0, v94, s[2:3]
	v_cvt_f32_f16_e32 v61, v49
	v_cndmask_b32_e64 v42, 0, v95, s[2:3]
	v_max_f32_e32 v47, 0, v47
	v_max_f32_e32 v37, 0, v37
	v_add_f32_e32 v43, v46, v61
	v_cvt_f32_f16_sdwa v61, v49 dst_sel:DWORD dst_unused:UNUSED_PAD src0_sel:WORD_1
	v_add_u32_e32 v46, 0x42, v31
	v_cmp_gt_i32_e64 s[2:3], s19, v46
	s_and_b64 s[4:5], s[2:3], vcc
	s_and_b64 s[2:3], s[2:3], s[0:1]
	v_add_f32_e32 v44, v44, v61
	v_max_f32_e32 v43, 0, v43
	v_max_f32_e32 v44, 0, v44
	;; [unrolled: 1-line block ×4, first 2 shown]
	s_waitcnt vmcnt(3)
	v_cndmask_b32_e64 v64, 0, v96, s[4:5]
	v_cvt_f32_f16_e32 v90, v64
	v_cvt_f32_f16_sdwa v64, v64 dst_sel:DWORD dst_unused:UNUSED_PAD src0_sel:WORD_1
	s_waitcnt vmcnt(2)
	v_cndmask_b32_e64 v83, 0, v83, s[2:3]
	v_cndmask_b32_e64 v61, 0, v84, s[2:3]
	v_cvt_f32_f16_e32 v84, v83
	v_add_f32_e32 v51, v51, v64
	v_cvt_f32_f16_sdwa v83, v83 dst_sel:DWORD dst_unused:UNUSED_PAD src0_sel:WORD_1
	v_cndmask_b32_e64 v49, 0, v97, s[4:5]
	v_add_f32_e32 v64, v58, v84
	v_add_u32_e32 v58, 0x43, v31
	v_cmp_gt_i32_e64 s[2:3], s19, v58
	s_and_b64 vcc, s[2:3], vcc
	s_waitcnt vmcnt(1)
	v_cndmask_b32_e32 v85, 0, v85, vcc
	v_cndmask_b32_e32 v84, 0, v86, vcc
	v_cvt_f32_f16_e32 v86, v85
	v_cvt_f32_f16_sdwa v85, v85 dst_sel:DWORD dst_unused:UNUSED_PAD src0_sel:WORD_1
	s_and_b64 vcc, s[2:3], s[0:1]
	v_add_f32_e32 v66, v66, v83
	v_add_f32_e32 v56, v56, v86
	;; [unrolled: 1-line block ×3, first 2 shown]
	s_waitcnt vmcnt(0)
	v_cndmask_b32_e32 v86, 0, v87, vcc
	v_cvt_f32_f16_e32 v87, v86
	v_cvt_f32_f16_sdwa v85, v86 dst_sel:DWORD dst_unused:UNUSED_PAD src0_sel:WORD_1
	v_max_f32_e32 v86, 0, v60
	v_max_f32_e32 v83, 0, v56
	v_add_f32_e32 v60, v69, v87
	v_max_f32_e32 v87, 0, v60
	v_add_f32_e32 v60, v68, v85
	v_cvt_f32_f16_sdwa v68, v73 dst_sel:DWORD dst_unused:UNUSED_PAD src0_sel:WORD_1
	v_cvt_f32_f16_e32 v69, v73
	v_max_f32_e32 v85, 0, v60
	v_mul_lo_u32 v60, v31, s34
	v_add_f32_e32 v41, v41, v68
	v_add_f32_e32 v40, v40, v69
	v_max_f32_e32 v40, 0, v40
	v_max_f32_e32 v41, 0, v41
	v_cvt_f16_f32_e32 v73, v75
	v_cvt_f16_f32_e32 v75, v80
	;; [unrolled: 1-line block ×4, first 2 shown]
	v_mad_u64_u32 v[40:41], s[0:1], v34, s35, v[60:61]
	v_cndmask_b32_e32 v56, 0, v88, vcc
	v_cmp_gt_i32_e32 vcc, s33, v34
	v_cmp_gt_i32_e64 s[2:3], s17, v31
	v_bfrev_b32_e32 v31, 1
	s_and_b64 s[0:1], s[2:3], vcc
	v_cndmask_b32_e64 v34, v31, 0, s[0:1]
	v_pack_b32_f16 v68, v73, v75
	v_pack_b32_f16 v69, v80, v69
	v_lshl_add_u32 v34, v40, 1, v34
	buffer_store_dwordx2 v[68:69], v34, s[8:11], 0 offen
	v_cvt_f32_f16_sdwa v34, v63 dst_sel:DWORD dst_unused:UNUSED_PAD src0_sel:WORD_1
	v_cvt_f32_f16_e32 v41, v63
	v_cvt_f16_f32_e32 v60, v74
	v_cvt_f16_f32_e32 v63, v81
	v_add_f32_e32 v34, v39, v34
	v_add_f32_e32 v38, v38, v41
	v_max_f32_e32 v38, 0, v38
	v_max_f32_e32 v34, 0, v34
	v_cvt_f16_f32_e32 v34, v34
	v_cvt_f16_f32_e32 v39, v38
	v_pack_b32_f16 v38, v60, v63
	v_cmp_gt_i32_e64 s[0:1], s33, v52
	v_cvt_f32_f16_sdwa v52, v76 dst_sel:DWORD dst_unused:UNUSED_PAD src0_sel:WORD_1
	v_cvt_f32_f16_e32 v60, v76
	s_lshl_b32 s4, s35, 6
	s_and_b64 s[2:3], s[2:3], s[0:1]
	v_add_u32_e32 v41, s4, v40
	v_pack_b32_f16 v39, v39, v34
	v_cndmask_b32_e64 v34, v31, 0, s[2:3]
	v_lshl_add_u32 v34, v41, 1, v34
	v_add_f32_e32 v33, v33, v52
	v_add_f32_e32 v32, v32, v60
	buffer_store_dwordx2 v[38:39], v34, s[8:11], 0 offen
	v_add_u32_e32 v34, s34, v41
	v_cvt_f32_f16_sdwa v39, v54 dst_sel:DWORD dst_unused:UNUSED_PAD src0_sel:WORD_1
	v_cvt_f32_f16_e32 v41, v54
	v_max_f32_e32 v32, 0, v32
	v_max_f32_e32 v33, 0, v33
	v_cvt_f16_f32_e32 v33, v33
	v_cvt_f16_f32_e32 v52, v32
	;; [unrolled: 1-line block ×4, first 2 shown]
	v_add_f32_e32 v25, v25, v39
	v_add_f32_e32 v24, v24, v41
	v_cmp_gt_i32_e64 s[2:3], s17, v59
	v_max_f32_e32 v24, 0, v24
	v_max_f32_e32 v25, 0, v25
	v_pack_b32_f16 v33, v52, v33
	s_and_b64 s[6:7], s[2:3], s[0:1]
	v_cvt_f16_f32_e32 v52, v62
	v_cvt_f16_f32_e32 v54, v72
	;; [unrolled: 1-line block ×4, first 2 shown]
	v_cndmask_b32_e64 v38, v31, 0, s[6:7]
	v_pack_b32_f16 v32, v63, v68
	v_lshl_add_u32 v38, v34, 1, v38
	s_and_b64 s[2:3], s[2:3], vcc
	buffer_store_dwordx2 v[32:33], v38, s[8:11], 0 offen
	v_add_u32_e32 v32, s34, v40
	v_cndmask_b32_e64 v33, v31, 0, s[2:3]
	v_cmp_gt_i32_e64 s[2:3], s17, v55
	v_pack_b32_f16 v24, v52, v54
	v_pack_b32_f16 v25, v39, v25
	v_lshl_add_u32 v33, v32, 1, v33
	s_and_b64 s[6:7], s[2:3], vcc
	v_cvt_f32_f16_sdwa v38, v67 dst_sel:DWORD dst_unused:UNUSED_PAD src0_sel:WORD_1
	v_cvt_f32_f16_e32 v39, v67
	buffer_store_dwordx2 v[24:25], v33, s[8:11], 0 offen
	v_add_u32_e32 v24, s34, v32
	v_cndmask_b32_e64 v25, v31, 0, s[6:7]
	v_lshl_add_u32 v24, v24, 1, v25
	v_cvt_f32_f16_sdwa v25, v65 dst_sel:DWORD dst_unused:UNUSED_PAD src0_sel:WORD_1
	v_cvt_f32_f16_e32 v32, v65
	v_add_f32_e32 v19, v19, v38
	v_add_f32_e32 v18, v18, v39
	v_max_f32_e32 v18, 0, v18
	v_max_f32_e32 v19, 0, v19
	v_add_f32_e32 v23, v23, v25
	v_add_f32_e32 v22, v22, v32
	v_cvt_f16_f32_e32 v40, v78
	v_cvt_f16_f32_e32 v41, v79
	;; [unrolled: 1-line block ×4, first 2 shown]
	v_max_f32_e32 v22, 0, v22
	v_max_f32_e32 v23, 0, v23
	v_cvt_f16_f32_e32 v23, v23
	v_cvt_f16_f32_e32 v22, v22
	v_pack_b32_f16 v18, v40, v41
	v_pack_b32_f16 v19, v38, v19
	buffer_store_dwordx2 v[18:19], v24, s[8:11], 0 offen
	v_pack_b32_f16 v19, v22, v23
	v_cvt_f32_f16_sdwa v23, v77 dst_sel:DWORD dst_unused:UNUSED_PAD src0_sel:WORD_1
	v_cvt_f32_f16_e32 v25, v77
	v_cvt_f16_f32_e32 v33, v82
	v_cvt_f16_f32_e32 v38, v100
	v_add_f32_e32 v17, v17, v23
	v_add_f32_e32 v16, v16, v25
	v_max_f32_e32 v16, 0, v16
	v_max_f32_e32 v17, 0, v17
	v_cvt_f16_f32_e32 v17, v17
	v_cvt_f16_f32_e32 v23, v16
	s_and_b64 s[2:3], s[2:3], s[0:1]
	v_add_u32_e32 v24, s34, v34
	v_cndmask_b32_e64 v22, v31, 0, s[2:3]
	v_pack_b32_f16 v18, v33, v38
	v_lshl_add_u32 v22, v24, 1, v22
	buffer_store_dwordx2 v[18:19], v22, s[8:11], 0 offen
	v_pack_b32_f16 v17, v23, v17
	v_cvt_f32_f16_sdwa v22, v53 dst_sel:DWORD dst_unused:UNUSED_PAD src0_sel:WORD_1
	v_cvt_f32_f16_e32 v23, v53
	v_cvt_f16_f32_e32 v32, v89
	v_cvt_f16_f32_e32 v33, v101
	v_add_f32_e32 v11, v11, v22
	v_add_f32_e32 v10, v10, v23
	v_cmp_gt_i32_e64 s[2:3], s17, v57
	v_max_f32_e32 v10, 0, v10
	v_max_f32_e32 v11, 0, v11
	v_pack_b32_f16 v16, v32, v33
	s_and_b64 s[6:7], s[2:3], s[0:1]
	v_cvt_f16_f32_e32 v25, v70
	v_cvt_f16_f32_e32 v32, v71
	;; [unrolled: 1-line block ×4, first 2 shown]
	v_add_u32_e32 v18, s34, v24
	v_cndmask_b32_e64 v19, v31, 0, s[6:7]
	v_lshl_add_u32 v19, v18, 1, v19
	s_and_b64 s[2:3], s[2:3], vcc
	buffer_store_dwordx2 v[16:17], v19, s[8:11], 0 offen
	v_subrev_u32_e32 v16, s4, v18
	v_cndmask_b32_e64 v17, v31, 0, s[2:3]
	v_pack_b32_f16 v10, v25, v32
	v_pack_b32_f16 v11, v22, v11
	v_lshl_add_u32 v17, v16, 1, v17
	buffer_store_dwordx2 v[10:11], v17, s[8:11], 0 offen
	v_cvt_f32_f16_e32 v10, v84
	v_cvt_f32_f16_sdwa v11, v84 dst_sel:DWORD dst_unused:UNUSED_PAD src0_sel:WORD_1
	v_cmp_gt_i32_e64 s[2:3], s17, v58
	s_lshl_b32 s5, s34, 6
	v_add_f32_e32 v10, v14, v10
	v_add_f32_e32 v11, v15, v11
	v_max_f32_e32 v11, 0, v11
	v_max_f32_e32 v10, 0, v10
	v_cvt_f16_f32_e32 v14, v10
	v_cvt_f16_f32_e32 v11, v11
	s_and_b64 s[6:7], s[2:3], vcc
	v_add_u32_e32 v15, s5, v16
	v_cvt_f32_f16_sdwa v16, v56 dst_sel:DWORD dst_unused:UNUSED_PAD src0_sel:WORD_1
	v_pack_b32_f16 v11, v14, v11
	v_cndmask_b32_e64 v14, v31, 0, s[6:7]
	v_lshl_add_u32 v14, v15, 1, v14
	v_cvt_f32_f16_e32 v15, v56
	v_add_f32_e32 v16, v21, v16
	v_cvt_f16_f32_e32 v17, v83
	v_cvt_f16_f32_e32 v19, v86
	v_add_f32_e32 v15, v20, v15
	v_max_f32_e32 v16, 0, v16
	v_max_f32_e32 v15, 0, v15
	v_cvt_f16_f32_e32 v15, v15
	v_cvt_f16_f32_e32 v16, v16
	v_pack_b32_f16 v10, v17, v19
	s_and_b64 s[2:3], s[2:3], s[0:1]
	buffer_store_dwordx2 v[10:11], v14, s[8:11], 0 offen
	v_add_u32_e32 v14, s5, v18
	v_pack_b32_f16 v11, v15, v16
	v_cndmask_b32_e64 v15, v31, 0, s[2:3]
	v_lshl_add_u32 v14, v14, 1, v15
	v_cvt_f32_f16_sdwa v15, v61 dst_sel:DWORD dst_unused:UNUSED_PAD src0_sel:WORD_1
	v_cvt_f32_f16_e32 v16, v61
	v_cvt_f16_f32_e32 v17, v87
	v_cvt_f16_f32_e32 v19, v85
	v_add_f32_e32 v13, v13, v15
	v_add_f32_e32 v12, v12, v16
	v_max_f32_e32 v12, 0, v12
	v_max_f32_e32 v13, 0, v13
	v_cvt_f16_f32_e32 v13, v13
	v_cvt_f16_f32_e32 v12, v12
	v_pack_b32_f16 v10, v17, v19
	buffer_store_dwordx2 v[10:11], v14, s[8:11], 0 offen
	v_cvt_f32_f16_e32 v15, v49
	v_pack_b32_f16 v11, v12, v13
	v_cvt_f32_f16_sdwa v13, v49 dst_sel:DWORD dst_unused:UNUSED_PAD src0_sel:WORD_1
	v_max_f32_e32 v64, 0, v64
	v_max_f32_e32 v66, 0, v66
	v_cvt_f16_f32_e32 v17, v64
	v_cvt_f16_f32_e32 v18, v66
	v_add_f32_e32 v50, v50, v90
	v_add_f32_e32 v9, v9, v13
	;; [unrolled: 1-line block ×3, first 2 shown]
	v_max_f32_e32 v50, 0, v50
	v_max_f32_e32 v51, 0, v51
	v_cmp_ge_i32_e64 s[2:3], s17, v58
	v_max_f32_e32 v8, 0, v8
	v_max_f32_e32 v9, 0, v9
	v_pack_b32_f16 v10, v17, v18
	s_and_b64 s[2:3], s[2:3], s[0:1]
	v_cvt_f16_f32_e32 v16, v50
	v_cvt_f16_f32_e32 v17, v51
	;; [unrolled: 1-line block ×4, first 2 shown]
	v_add_u32_e32 v14, s5, v24
	v_cndmask_b32_e64 v12, v31, 0, s[2:3]
	v_cmp_gt_i32_e64 s[2:3], s17, v46
	v_lshl_add_u32 v12, v14, 1, v12
	s_and_b64 s[2:3], s[2:3], vcc
	buffer_store_dwordx2 v[10:11], v12, s[8:11], 0 offen
	v_subrev_u32_e32 v10, s4, v14
	v_cndmask_b32_e64 v11, v31, 0, s[2:3]
	v_pack_b32_f16 v8, v16, v17
	v_pack_b32_f16 v9, v13, v9
	v_lshl_add_u32 v11, v10, 1, v11
	v_cvt_f32_f16_sdwa v12, v45 dst_sel:DWORD dst_unused:UNUSED_PAD src0_sel:WORD_1
	v_cvt_f32_f16_e32 v13, v45
	buffer_store_dwordx2 v[8:9], v11, s[8:11], 0 offen
	v_subrev_u32_e32 v8, s34, v10
	v_cvt_f32_f16_sdwa v10, v42 dst_sel:DWORD dst_unused:UNUSED_PAD src0_sel:WORD_1
	v_cvt_f32_f16_e32 v11, v42
	v_add_f32_e32 v5, v5, v12
	v_add_f32_e32 v4, v4, v13
	v_max_f32_e32 v4, 0, v4
	v_max_f32_e32 v5, 0, v5
	v_add_f32_e32 v7, v7, v10
	v_add_f32_e32 v6, v6, v11
	v_cvt_f16_f32_e32 v14, v47
	v_cvt_f16_f32_e32 v15, v48
	;; [unrolled: 1-line block ×4, first 2 shown]
	v_max_f32_e32 v6, 0, v6
	v_max_f32_e32 v7, 0, v7
	v_cmp_ge_i32_e64 s[2:3], s17, v46
	v_cvt_f16_f32_e32 v7, v7
	v_cvt_f16_f32_e32 v6, v6
	s_and_b64 s[2:3], s[2:3], vcc
	v_cndmask_b32_e64 v9, v31, 0, s[2:3]
	v_pack_b32_f16 v4, v14, v15
	v_pack_b32_f16 v5, v12, v5
	v_lshl_add_u32 v9, v8, 1, v9
	buffer_store_dwordx2 v[4:5], v9, s[8:11], 0 offen
	v_pack_b32_f16 v5, v6, v7
	v_cvt_f32_f16_sdwa v7, v35 dst_sel:DWORD dst_unused:UNUSED_PAD src0_sel:WORD_1
	v_cvt_f32_f16_e32 v9, v35
	v_cvt_f16_f32_e32 v12, v43
	v_cvt_f16_f32_e32 v13, v44
	v_add_f32_e32 v3, v3, v7
	v_add_f32_e32 v2, v2, v9
	v_max_f32_e32 v2, 0, v2
	v_max_f32_e32 v3, 0, v3
	v_cmp_gt_i32_e64 s[2:3], s17, v30
	v_cvt_f16_f32_e32 v3, v3
	v_cvt_f16_f32_e32 v7, v2
	s_and_b64 s[2:3], s[2:3], s[0:1]
	v_add_u32_e32 v8, s4, v8
	v_cndmask_b32_e64 v6, v31, 0, s[2:3]
	v_pack_b32_f16 v4, v12, v13
	v_lshl_add_u32 v6, v8, 1, v6
	buffer_store_dwordx2 v[4:5], v6, s[8:11], 0 offen
	v_pack_b32_f16 v3, v7, v3
	v_cvt_f32_f16_sdwa v6, v27 dst_sel:DWORD dst_unused:UNUSED_PAD src0_sel:WORD_1
	v_cvt_f32_f16_e32 v7, v27
	v_cvt_f16_f32_e32 v10, v36
	v_cvt_f16_f32_e32 v11, v37
	v_add_f32_e32 v1, v1, v6
	v_add_f32_e32 v0, v0, v7
	v_cmp_ge_i32_e64 s[2:3], s17, v30
	v_max_f32_e32 v0, 0, v0
	v_max_f32_e32 v1, 0, v1
	v_subrev_u32_e32 v4, s34, v8
	s_and_b64 s[0:1], s[2:3], s[0:1]
	v_cvt_f16_f32_e32 v8, v28
	v_cvt_f16_f32_e32 v9, v29
	;; [unrolled: 1-line block ×4, first 2 shown]
	v_cndmask_b32_e64 v5, v31, 0, s[0:1]
	v_cmp_gt_i32_e64 s[0:1], s17, v26
	v_pack_b32_f16 v2, v10, v11
	v_lshl_add_u32 v5, v4, 1, v5
	s_and_b64 s[0:1], s[0:1], vcc
	buffer_store_dwordx2 v[2:3], v5, s[8:11], 0 offen
	v_subrev_u32_e32 v2, s4, v4
	v_cndmask_b32_e64 v3, v31, 0, s[0:1]
	v_pack_b32_f16 v0, v8, v9
	v_pack_b32_f16 v1, v6, v1
	v_lshl_add_u32 v2, v2, 1, v3
	buffer_store_dwordx2 v[0:1], v2, s[8:11], 0 offen
	s_endpgm
	.section	.rodata,"a",@progbits
	.p2align	6, 0x0
	.amdhsa_kernel _ZN2ck16tensor_operation6device12_GLOBAL__N_137kernel_grouped_conv_fwd_dl_multiple_dINS_32GridwiseGemmDlMultipleD_km_kn_mnILi256EDF16_fNS_5TupleIJDF16_EEEDF16_NS0_12element_wise11PassThroughES8_NS7_7AddReluELNS_25InMemoryDataOperationEnumE0ENS_16TensorDescriptorINS5_IJNS_5EmbedINS5_IJiiiEEESD_Lb0EEENS_11PassThroughIiEENS_3PadIiiiLb0EEESG_SG_NSC_INS5_IJiiEEESJ_Lb0EEESG_NS_23Merge_v2_magic_divisionISJ_EESM_NS_8RightPadIiiLb0EEESO_NS_7UnMergeISJ_Lb0EEESG_EEENS5_IJNS_8SequenceIJLi0EEEENSS_IJLi1EEEENSS_IJLi2EEEENSS_IJLi3EEEENSS_IJLi4EEEENSS_IJLi5EEEENSS_IJLi6EEEENSS_IJLi7ELi9EEEENSS_IJLi8ELi10EEEENSS_IJLi11EEEENSS_IJLi12EEEENSS_IJLi14EEEENSS_IJLi13EEEEEEENS5_IJNSS_IJLi1ELi2ELi3EEEESX_SY_SZ_NSS_IJLi7EEEENSS_IJLi8ELi9EEEENSS_IJLi10EEEES12_S13_S15_S14_NSS_IJLi15ELi16EEEENSS_IJLi17EEEEEEENSS_IJLi15ELi17ELi16EEEElEENSB_INS5_IJSQ_SO_SO_SQ_SG_EEENS5_IJST_SU_SV_SX_SW_EEENS5_IJNSS_IJLi1ELi2EEEESW_SX_NSS_IJLi5ELi6EEEES18_EEENSS_IJLi5ELi7ELi6EEEElEENSB_INS5_IJSK_SO_SO_EEENS5_IJST_SU_SV_EEENS5_IJS1I_SW_SX_EEENSS_IJLi3ELi4EEEElEELi128ELi128ELi16ELi2ELi4ELi4ELi1ENSS_IJLi8ELi2EEEES1S_NSS_IJLi8ELi1ELi1ELi2EEEENSS_IJLi2ELi1ELi128ELi1EEEENSS_IJLi1ELi2ELi0ELi3EEEES1V_NSS_IJLi4ELi1ELi1ELi2EEEES1V_NSS_IJLi1ELi1ELi1ELi2EEEES1T_S1U_S1V_S1V_S1W_S1V_S1X_NSS_IJLi0ELi1ELi2ELi3ELi4ELi5EEEELi5ELi4EEEDF16_NS5_IJPKDF16_EEEDF16_S8_S8_S9_NSB_INS5_IJSE_SG_SI_SG_SG_SK_SG_SM_SM_SO_SO_SQ_SG_SG_NSP_INS5_IJiNS_17integral_constantIiLi128EEEEEELb0EEENSF_INS23_IiLi2EEEEEEEENS5_IJST_SU_SV_SW_SX_SY_SZ_S10_S11_S12_S13_S14_S15_NSS_IJLi15EEEES1C_NSS_IJLi16EEEEEEENS5_IJS17_SX_SY_SZ_S18_S19_S1A_S12_S13_S15_S14_S1B_S1C_NSS_IJLi18EEEENSS_IJLi19ELi20EEEENSS_IJLi21EEEEEEENSS_IJLi18ELi19ELi20ELi21EEEElEENSB_INS5_IJSQ_SO_SO_SQ_SG_SG_S26_S28_EEENS5_IJST_SU_SV_SX_SW_SY_S18_SZ_EEENS5_IJS1I_SW_SX_S1J_S18_NSS_IJLi8EEEENSS_IJLi9ELi10EEEES12_EEENSS_IJLi8ELi9ELi10ELi11EEEElEENS5_IJNSB_INS5_IJSK_SO_SO_NSP_INS5_IJiS27_NS23_IiLi64EEEEEELb0EEES2S_EEENS5_IJST_SU_SV_SW_SX_EEENS5_IJS1I_SW_SX_NSS_IJLi5ELi6ELi7EEEENSS_IJLi8ELi9ELi10EEEEEEENSS_IJLi5ELi6ELi7ELi8ELi9ELi10EEEElEEEEES2Z_NS_31BlockToCTileMap_M00_N00_M01_N01ILi128ELi128ES1R_Lb0EEENS1_30ComputePtrOffsetOfStridedBatchILi1ELi1ELi1EvEELb1ELb0EEEvPKT0_S37_T1_PT2_T3_T4_T5_iT6_T7_T8_T9_T10_T11_
		.amdhsa_group_segment_fixed_size 32768
		.amdhsa_private_segment_fixed_size 140
		.amdhsa_kernarg_size 904
		.amdhsa_user_sgpr_count 6
		.amdhsa_user_sgpr_private_segment_buffer 1
		.amdhsa_user_sgpr_dispatch_ptr 0
		.amdhsa_user_sgpr_queue_ptr 0
		.amdhsa_user_sgpr_kernarg_segment_ptr 1
		.amdhsa_user_sgpr_dispatch_id 0
		.amdhsa_user_sgpr_flat_scratch_init 0
		.amdhsa_user_sgpr_private_segment_size 0
		.amdhsa_uses_dynamic_stack 0
		.amdhsa_system_sgpr_private_segment_wavefront_offset 1
		.amdhsa_system_sgpr_workgroup_id_x 1
		.amdhsa_system_sgpr_workgroup_id_y 0
		.amdhsa_system_sgpr_workgroup_id_z 0
		.amdhsa_system_sgpr_workgroup_info 0
		.amdhsa_system_vgpr_workitem_id 0
		.amdhsa_next_free_vgpr 128
		.amdhsa_next_free_sgpr 98
		.amdhsa_reserve_vcc 1
		.amdhsa_reserve_flat_scratch 0
		.amdhsa_float_round_mode_32 0
		.amdhsa_float_round_mode_16_64 0
		.amdhsa_float_denorm_mode_32 3
		.amdhsa_float_denorm_mode_16_64 3
		.amdhsa_dx10_clamp 1
		.amdhsa_ieee_mode 1
		.amdhsa_fp16_overflow 0
		.amdhsa_exception_fp_ieee_invalid_op 0
		.amdhsa_exception_fp_denorm_src 0
		.amdhsa_exception_fp_ieee_div_zero 0
		.amdhsa_exception_fp_ieee_overflow 0
		.amdhsa_exception_fp_ieee_underflow 0
		.amdhsa_exception_fp_ieee_inexact 0
		.amdhsa_exception_int_div_zero 0
	.end_amdhsa_kernel
	.section	.text._ZN2ck16tensor_operation6device12_GLOBAL__N_137kernel_grouped_conv_fwd_dl_multiple_dINS_32GridwiseGemmDlMultipleD_km_kn_mnILi256EDF16_fNS_5TupleIJDF16_EEEDF16_NS0_12element_wise11PassThroughES8_NS7_7AddReluELNS_25InMemoryDataOperationEnumE0ENS_16TensorDescriptorINS5_IJNS_5EmbedINS5_IJiiiEEESD_Lb0EEENS_11PassThroughIiEENS_3PadIiiiLb0EEESG_SG_NSC_INS5_IJiiEEESJ_Lb0EEESG_NS_23Merge_v2_magic_divisionISJ_EESM_NS_8RightPadIiiLb0EEESO_NS_7UnMergeISJ_Lb0EEESG_EEENS5_IJNS_8SequenceIJLi0EEEENSS_IJLi1EEEENSS_IJLi2EEEENSS_IJLi3EEEENSS_IJLi4EEEENSS_IJLi5EEEENSS_IJLi6EEEENSS_IJLi7ELi9EEEENSS_IJLi8ELi10EEEENSS_IJLi11EEEENSS_IJLi12EEEENSS_IJLi14EEEENSS_IJLi13EEEEEEENS5_IJNSS_IJLi1ELi2ELi3EEEESX_SY_SZ_NSS_IJLi7EEEENSS_IJLi8ELi9EEEENSS_IJLi10EEEES12_S13_S15_S14_NSS_IJLi15ELi16EEEENSS_IJLi17EEEEEEENSS_IJLi15ELi17ELi16EEEElEENSB_INS5_IJSQ_SO_SO_SQ_SG_EEENS5_IJST_SU_SV_SX_SW_EEENS5_IJNSS_IJLi1ELi2EEEESW_SX_NSS_IJLi5ELi6EEEES18_EEENSS_IJLi5ELi7ELi6EEEElEENSB_INS5_IJSK_SO_SO_EEENS5_IJST_SU_SV_EEENS5_IJS1I_SW_SX_EEENSS_IJLi3ELi4EEEElEELi128ELi128ELi16ELi2ELi4ELi4ELi1ENSS_IJLi8ELi2EEEES1S_NSS_IJLi8ELi1ELi1ELi2EEEENSS_IJLi2ELi1ELi128ELi1EEEENSS_IJLi1ELi2ELi0ELi3EEEES1V_NSS_IJLi4ELi1ELi1ELi2EEEES1V_NSS_IJLi1ELi1ELi1ELi2EEEES1T_S1U_S1V_S1V_S1W_S1V_S1X_NSS_IJLi0ELi1ELi2ELi3ELi4ELi5EEEELi5ELi4EEEDF16_NS5_IJPKDF16_EEEDF16_S8_S8_S9_NSB_INS5_IJSE_SG_SI_SG_SG_SK_SG_SM_SM_SO_SO_SQ_SG_SG_NSP_INS5_IJiNS_17integral_constantIiLi128EEEEEELb0EEENSF_INS23_IiLi2EEEEEEEENS5_IJST_SU_SV_SW_SX_SY_SZ_S10_S11_S12_S13_S14_S15_NSS_IJLi15EEEES1C_NSS_IJLi16EEEEEEENS5_IJS17_SX_SY_SZ_S18_S19_S1A_S12_S13_S15_S14_S1B_S1C_NSS_IJLi18EEEENSS_IJLi19ELi20EEEENSS_IJLi21EEEEEEENSS_IJLi18ELi19ELi20ELi21EEEElEENSB_INS5_IJSQ_SO_SO_SQ_SG_SG_S26_S28_EEENS5_IJST_SU_SV_SX_SW_SY_S18_SZ_EEENS5_IJS1I_SW_SX_S1J_S18_NSS_IJLi8EEEENSS_IJLi9ELi10EEEES12_EEENSS_IJLi8ELi9ELi10ELi11EEEElEENS5_IJNSB_INS5_IJSK_SO_SO_NSP_INS5_IJiS27_NS23_IiLi64EEEEEELb0EEES2S_EEENS5_IJST_SU_SV_SW_SX_EEENS5_IJS1I_SW_SX_NSS_IJLi5ELi6ELi7EEEENSS_IJLi8ELi9ELi10EEEEEEENSS_IJLi5ELi6ELi7ELi8ELi9ELi10EEEElEEEEES2Z_NS_31BlockToCTileMap_M00_N00_M01_N01ILi128ELi128ES1R_Lb0EEENS1_30ComputePtrOffsetOfStridedBatchILi1ELi1ELi1EvEELb1ELb0EEEvPKT0_S37_T1_PT2_T3_T4_T5_iT6_T7_T8_T9_T10_T11_,"axG",@progbits,_ZN2ck16tensor_operation6device12_GLOBAL__N_137kernel_grouped_conv_fwd_dl_multiple_dINS_32GridwiseGemmDlMultipleD_km_kn_mnILi256EDF16_fNS_5TupleIJDF16_EEEDF16_NS0_12element_wise11PassThroughES8_NS7_7AddReluELNS_25InMemoryDataOperationEnumE0ENS_16TensorDescriptorINS5_IJNS_5EmbedINS5_IJiiiEEESD_Lb0EEENS_11PassThroughIiEENS_3PadIiiiLb0EEESG_SG_NSC_INS5_IJiiEEESJ_Lb0EEESG_NS_23Merge_v2_magic_divisionISJ_EESM_NS_8RightPadIiiLb0EEESO_NS_7UnMergeISJ_Lb0EEESG_EEENS5_IJNS_8SequenceIJLi0EEEENSS_IJLi1EEEENSS_IJLi2EEEENSS_IJLi3EEEENSS_IJLi4EEEENSS_IJLi5EEEENSS_IJLi6EEEENSS_IJLi7ELi9EEEENSS_IJLi8ELi10EEEENSS_IJLi11EEEENSS_IJLi12EEEENSS_IJLi14EEEENSS_IJLi13EEEEEEENS5_IJNSS_IJLi1ELi2ELi3EEEESX_SY_SZ_NSS_IJLi7EEEENSS_IJLi8ELi9EEEENSS_IJLi10EEEES12_S13_S15_S14_NSS_IJLi15ELi16EEEENSS_IJLi17EEEEEEENSS_IJLi15ELi17ELi16EEEElEENSB_INS5_IJSQ_SO_SO_SQ_SG_EEENS5_IJST_SU_SV_SX_SW_EEENS5_IJNSS_IJLi1ELi2EEEESW_SX_NSS_IJLi5ELi6EEEES18_EEENSS_IJLi5ELi7ELi6EEEElEENSB_INS5_IJSK_SO_SO_EEENS5_IJST_SU_SV_EEENS5_IJS1I_SW_SX_EEENSS_IJLi3ELi4EEEElEELi128ELi128ELi16ELi2ELi4ELi4ELi1ENSS_IJLi8ELi2EEEES1S_NSS_IJLi8ELi1ELi1ELi2EEEENSS_IJLi2ELi1ELi128ELi1EEEENSS_IJLi1ELi2ELi0ELi3EEEES1V_NSS_IJLi4ELi1ELi1ELi2EEEES1V_NSS_IJLi1ELi1ELi1ELi2EEEES1T_S1U_S1V_S1V_S1W_S1V_S1X_NSS_IJLi0ELi1ELi2ELi3ELi4ELi5EEEELi5ELi4EEEDF16_NS5_IJPKDF16_EEEDF16_S8_S8_S9_NSB_INS5_IJSE_SG_SI_SG_SG_SK_SG_SM_SM_SO_SO_SQ_SG_SG_NSP_INS5_IJiNS_17integral_constantIiLi128EEEEEELb0EEENSF_INS23_IiLi2EEEEEEEENS5_IJST_SU_SV_SW_SX_SY_SZ_S10_S11_S12_S13_S14_S15_NSS_IJLi15EEEES1C_NSS_IJLi16EEEEEEENS5_IJS17_SX_SY_SZ_S18_S19_S1A_S12_S13_S15_S14_S1B_S1C_NSS_IJLi18EEEENSS_IJLi19ELi20EEEENSS_IJLi21EEEEEEENSS_IJLi18ELi19ELi20ELi21EEEElEENSB_INS5_IJSQ_SO_SO_SQ_SG_SG_S26_S28_EEENS5_IJST_SU_SV_SX_SW_SY_S18_SZ_EEENS5_IJS1I_SW_SX_S1J_S18_NSS_IJLi8EEEENSS_IJLi9ELi10EEEES12_EEENSS_IJLi8ELi9ELi10ELi11EEEElEENS5_IJNSB_INS5_IJSK_SO_SO_NSP_INS5_IJiS27_NS23_IiLi64EEEEEELb0EEES2S_EEENS5_IJST_SU_SV_SW_SX_EEENS5_IJS1I_SW_SX_NSS_IJLi5ELi6ELi7EEEENSS_IJLi8ELi9ELi10EEEEEEENSS_IJLi5ELi6ELi7ELi8ELi9ELi10EEEElEEEEES2Z_NS_31BlockToCTileMap_M00_N00_M01_N01ILi128ELi128ES1R_Lb0EEENS1_30ComputePtrOffsetOfStridedBatchILi1ELi1ELi1EvEELb1ELb0EEEvPKT0_S37_T1_PT2_T3_T4_T5_iT6_T7_T8_T9_T10_T11_,comdat
.Lfunc_end2:
	.size	_ZN2ck16tensor_operation6device12_GLOBAL__N_137kernel_grouped_conv_fwd_dl_multiple_dINS_32GridwiseGemmDlMultipleD_km_kn_mnILi256EDF16_fNS_5TupleIJDF16_EEEDF16_NS0_12element_wise11PassThroughES8_NS7_7AddReluELNS_25InMemoryDataOperationEnumE0ENS_16TensorDescriptorINS5_IJNS_5EmbedINS5_IJiiiEEESD_Lb0EEENS_11PassThroughIiEENS_3PadIiiiLb0EEESG_SG_NSC_INS5_IJiiEEESJ_Lb0EEESG_NS_23Merge_v2_magic_divisionISJ_EESM_NS_8RightPadIiiLb0EEESO_NS_7UnMergeISJ_Lb0EEESG_EEENS5_IJNS_8SequenceIJLi0EEEENSS_IJLi1EEEENSS_IJLi2EEEENSS_IJLi3EEEENSS_IJLi4EEEENSS_IJLi5EEEENSS_IJLi6EEEENSS_IJLi7ELi9EEEENSS_IJLi8ELi10EEEENSS_IJLi11EEEENSS_IJLi12EEEENSS_IJLi14EEEENSS_IJLi13EEEEEEENS5_IJNSS_IJLi1ELi2ELi3EEEESX_SY_SZ_NSS_IJLi7EEEENSS_IJLi8ELi9EEEENSS_IJLi10EEEES12_S13_S15_S14_NSS_IJLi15ELi16EEEENSS_IJLi17EEEEEEENSS_IJLi15ELi17ELi16EEEElEENSB_INS5_IJSQ_SO_SO_SQ_SG_EEENS5_IJST_SU_SV_SX_SW_EEENS5_IJNSS_IJLi1ELi2EEEESW_SX_NSS_IJLi5ELi6EEEES18_EEENSS_IJLi5ELi7ELi6EEEElEENSB_INS5_IJSK_SO_SO_EEENS5_IJST_SU_SV_EEENS5_IJS1I_SW_SX_EEENSS_IJLi3ELi4EEEElEELi128ELi128ELi16ELi2ELi4ELi4ELi1ENSS_IJLi8ELi2EEEES1S_NSS_IJLi8ELi1ELi1ELi2EEEENSS_IJLi2ELi1ELi128ELi1EEEENSS_IJLi1ELi2ELi0ELi3EEEES1V_NSS_IJLi4ELi1ELi1ELi2EEEES1V_NSS_IJLi1ELi1ELi1ELi2EEEES1T_S1U_S1V_S1V_S1W_S1V_S1X_NSS_IJLi0ELi1ELi2ELi3ELi4ELi5EEEELi5ELi4EEEDF16_NS5_IJPKDF16_EEEDF16_S8_S8_S9_NSB_INS5_IJSE_SG_SI_SG_SG_SK_SG_SM_SM_SO_SO_SQ_SG_SG_NSP_INS5_IJiNS_17integral_constantIiLi128EEEEEELb0EEENSF_INS23_IiLi2EEEEEEEENS5_IJST_SU_SV_SW_SX_SY_SZ_S10_S11_S12_S13_S14_S15_NSS_IJLi15EEEES1C_NSS_IJLi16EEEEEEENS5_IJS17_SX_SY_SZ_S18_S19_S1A_S12_S13_S15_S14_S1B_S1C_NSS_IJLi18EEEENSS_IJLi19ELi20EEEENSS_IJLi21EEEEEEENSS_IJLi18ELi19ELi20ELi21EEEElEENSB_INS5_IJSQ_SO_SO_SQ_SG_SG_S26_S28_EEENS5_IJST_SU_SV_SX_SW_SY_S18_SZ_EEENS5_IJS1I_SW_SX_S1J_S18_NSS_IJLi8EEEENSS_IJLi9ELi10EEEES12_EEENSS_IJLi8ELi9ELi10ELi11EEEElEENS5_IJNSB_INS5_IJSK_SO_SO_NSP_INS5_IJiS27_NS23_IiLi64EEEEEELb0EEES2S_EEENS5_IJST_SU_SV_SW_SX_EEENS5_IJS1I_SW_SX_NSS_IJLi5ELi6ELi7EEEENSS_IJLi8ELi9ELi10EEEEEEENSS_IJLi5ELi6ELi7ELi8ELi9ELi10EEEElEEEEES2Z_NS_31BlockToCTileMap_M00_N00_M01_N01ILi128ELi128ES1R_Lb0EEENS1_30ComputePtrOffsetOfStridedBatchILi1ELi1ELi1EvEELb1ELb0EEEvPKT0_S37_T1_PT2_T3_T4_T5_iT6_T7_T8_T9_T10_T11_, .Lfunc_end2-_ZN2ck16tensor_operation6device12_GLOBAL__N_137kernel_grouped_conv_fwd_dl_multiple_dINS_32GridwiseGemmDlMultipleD_km_kn_mnILi256EDF16_fNS_5TupleIJDF16_EEEDF16_NS0_12element_wise11PassThroughES8_NS7_7AddReluELNS_25InMemoryDataOperationEnumE0ENS_16TensorDescriptorINS5_IJNS_5EmbedINS5_IJiiiEEESD_Lb0EEENS_11PassThroughIiEENS_3PadIiiiLb0EEESG_SG_NSC_INS5_IJiiEEESJ_Lb0EEESG_NS_23Merge_v2_magic_divisionISJ_EESM_NS_8RightPadIiiLb0EEESO_NS_7UnMergeISJ_Lb0EEESG_EEENS5_IJNS_8SequenceIJLi0EEEENSS_IJLi1EEEENSS_IJLi2EEEENSS_IJLi3EEEENSS_IJLi4EEEENSS_IJLi5EEEENSS_IJLi6EEEENSS_IJLi7ELi9EEEENSS_IJLi8ELi10EEEENSS_IJLi11EEEENSS_IJLi12EEEENSS_IJLi14EEEENSS_IJLi13EEEEEEENS5_IJNSS_IJLi1ELi2ELi3EEEESX_SY_SZ_NSS_IJLi7EEEENSS_IJLi8ELi9EEEENSS_IJLi10EEEES12_S13_S15_S14_NSS_IJLi15ELi16EEEENSS_IJLi17EEEEEEENSS_IJLi15ELi17ELi16EEEElEENSB_INS5_IJSQ_SO_SO_SQ_SG_EEENS5_IJST_SU_SV_SX_SW_EEENS5_IJNSS_IJLi1ELi2EEEESW_SX_NSS_IJLi5ELi6EEEES18_EEENSS_IJLi5ELi7ELi6EEEElEENSB_INS5_IJSK_SO_SO_EEENS5_IJST_SU_SV_EEENS5_IJS1I_SW_SX_EEENSS_IJLi3ELi4EEEElEELi128ELi128ELi16ELi2ELi4ELi4ELi1ENSS_IJLi8ELi2EEEES1S_NSS_IJLi8ELi1ELi1ELi2EEEENSS_IJLi2ELi1ELi128ELi1EEEENSS_IJLi1ELi2ELi0ELi3EEEES1V_NSS_IJLi4ELi1ELi1ELi2EEEES1V_NSS_IJLi1ELi1ELi1ELi2EEEES1T_S1U_S1V_S1V_S1W_S1V_S1X_NSS_IJLi0ELi1ELi2ELi3ELi4ELi5EEEELi5ELi4EEEDF16_NS5_IJPKDF16_EEEDF16_S8_S8_S9_NSB_INS5_IJSE_SG_SI_SG_SG_SK_SG_SM_SM_SO_SO_SQ_SG_SG_NSP_INS5_IJiNS_17integral_constantIiLi128EEEEEELb0EEENSF_INS23_IiLi2EEEEEEEENS5_IJST_SU_SV_SW_SX_SY_SZ_S10_S11_S12_S13_S14_S15_NSS_IJLi15EEEES1C_NSS_IJLi16EEEEEEENS5_IJS17_SX_SY_SZ_S18_S19_S1A_S12_S13_S15_S14_S1B_S1C_NSS_IJLi18EEEENSS_IJLi19ELi20EEEENSS_IJLi21EEEEEEENSS_IJLi18ELi19ELi20ELi21EEEElEENSB_INS5_IJSQ_SO_SO_SQ_SG_SG_S26_S28_EEENS5_IJST_SU_SV_SX_SW_SY_S18_SZ_EEENS5_IJS1I_SW_SX_S1J_S18_NSS_IJLi8EEEENSS_IJLi9ELi10EEEES12_EEENSS_IJLi8ELi9ELi10ELi11EEEElEENS5_IJNSB_INS5_IJSK_SO_SO_NSP_INS5_IJiS27_NS23_IiLi64EEEEEELb0EEES2S_EEENS5_IJST_SU_SV_SW_SX_EEENS5_IJS1I_SW_SX_NSS_IJLi5ELi6ELi7EEEENSS_IJLi8ELi9ELi10EEEEEEENSS_IJLi5ELi6ELi7ELi8ELi9ELi10EEEElEEEEES2Z_NS_31BlockToCTileMap_M00_N00_M01_N01ILi128ELi128ES1R_Lb0EEENS1_30ComputePtrOffsetOfStridedBatchILi1ELi1ELi1EvEELb1ELb0EEEvPKT0_S37_T1_PT2_T3_T4_T5_iT6_T7_T8_T9_T10_T11_
                                        ; -- End function
	.set _ZN2ck16tensor_operation6device12_GLOBAL__N_137kernel_grouped_conv_fwd_dl_multiple_dINS_32GridwiseGemmDlMultipleD_km_kn_mnILi256EDF16_fNS_5TupleIJDF16_EEEDF16_NS0_12element_wise11PassThroughES8_NS7_7AddReluELNS_25InMemoryDataOperationEnumE0ENS_16TensorDescriptorINS5_IJNS_5EmbedINS5_IJiiiEEESD_Lb0EEENS_11PassThroughIiEENS_3PadIiiiLb0EEESG_SG_NSC_INS5_IJiiEEESJ_Lb0EEESG_NS_23Merge_v2_magic_divisionISJ_EESM_NS_8RightPadIiiLb0EEESO_NS_7UnMergeISJ_Lb0EEESG_EEENS5_IJNS_8SequenceIJLi0EEEENSS_IJLi1EEEENSS_IJLi2EEEENSS_IJLi3EEEENSS_IJLi4EEEENSS_IJLi5EEEENSS_IJLi6EEEENSS_IJLi7ELi9EEEENSS_IJLi8ELi10EEEENSS_IJLi11EEEENSS_IJLi12EEEENSS_IJLi14EEEENSS_IJLi13EEEEEEENS5_IJNSS_IJLi1ELi2ELi3EEEESX_SY_SZ_NSS_IJLi7EEEENSS_IJLi8ELi9EEEENSS_IJLi10EEEES12_S13_S15_S14_NSS_IJLi15ELi16EEEENSS_IJLi17EEEEEEENSS_IJLi15ELi17ELi16EEEElEENSB_INS5_IJSQ_SO_SO_SQ_SG_EEENS5_IJST_SU_SV_SX_SW_EEENS5_IJNSS_IJLi1ELi2EEEESW_SX_NSS_IJLi5ELi6EEEES18_EEENSS_IJLi5ELi7ELi6EEEElEENSB_INS5_IJSK_SO_SO_EEENS5_IJST_SU_SV_EEENS5_IJS1I_SW_SX_EEENSS_IJLi3ELi4EEEElEELi128ELi128ELi16ELi2ELi4ELi4ELi1ENSS_IJLi8ELi2EEEES1S_NSS_IJLi8ELi1ELi1ELi2EEEENSS_IJLi2ELi1ELi128ELi1EEEENSS_IJLi1ELi2ELi0ELi3EEEES1V_NSS_IJLi4ELi1ELi1ELi2EEEES1V_NSS_IJLi1ELi1ELi1ELi2EEEES1T_S1U_S1V_S1V_S1W_S1V_S1X_NSS_IJLi0ELi1ELi2ELi3ELi4ELi5EEEELi5ELi4EEEDF16_NS5_IJPKDF16_EEEDF16_S8_S8_S9_NSB_INS5_IJSE_SG_SI_SG_SG_SK_SG_SM_SM_SO_SO_SQ_SG_SG_NSP_INS5_IJiNS_17integral_constantIiLi128EEEEEELb0EEENSF_INS23_IiLi2EEEEEEEENS5_IJST_SU_SV_SW_SX_SY_SZ_S10_S11_S12_S13_S14_S15_NSS_IJLi15EEEES1C_NSS_IJLi16EEEEEEENS5_IJS17_SX_SY_SZ_S18_S19_S1A_S12_S13_S15_S14_S1B_S1C_NSS_IJLi18EEEENSS_IJLi19ELi20EEEENSS_IJLi21EEEEEEENSS_IJLi18ELi19ELi20ELi21EEEElEENSB_INS5_IJSQ_SO_SO_SQ_SG_SG_S26_S28_EEENS5_IJST_SU_SV_SX_SW_SY_S18_SZ_EEENS5_IJS1I_SW_SX_S1J_S18_NSS_IJLi8EEEENSS_IJLi9ELi10EEEES12_EEENSS_IJLi8ELi9ELi10ELi11EEEElEENS5_IJNSB_INS5_IJSK_SO_SO_NSP_INS5_IJiS27_NS23_IiLi64EEEEEELb0EEES2S_EEENS5_IJST_SU_SV_SW_SX_EEENS5_IJS1I_SW_SX_NSS_IJLi5ELi6ELi7EEEENSS_IJLi8ELi9ELi10EEEEEEENSS_IJLi5ELi6ELi7ELi8ELi9ELi10EEEElEEEEES2Z_NS_31BlockToCTileMap_M00_N00_M01_N01ILi128ELi128ES1R_Lb0EEENS1_30ComputePtrOffsetOfStridedBatchILi1ELi1ELi1EvEELb1ELb0EEEvPKT0_S37_T1_PT2_T3_T4_T5_iT6_T7_T8_T9_T10_T11_.num_vgpr, 128
	.set _ZN2ck16tensor_operation6device12_GLOBAL__N_137kernel_grouped_conv_fwd_dl_multiple_dINS_32GridwiseGemmDlMultipleD_km_kn_mnILi256EDF16_fNS_5TupleIJDF16_EEEDF16_NS0_12element_wise11PassThroughES8_NS7_7AddReluELNS_25InMemoryDataOperationEnumE0ENS_16TensorDescriptorINS5_IJNS_5EmbedINS5_IJiiiEEESD_Lb0EEENS_11PassThroughIiEENS_3PadIiiiLb0EEESG_SG_NSC_INS5_IJiiEEESJ_Lb0EEESG_NS_23Merge_v2_magic_divisionISJ_EESM_NS_8RightPadIiiLb0EEESO_NS_7UnMergeISJ_Lb0EEESG_EEENS5_IJNS_8SequenceIJLi0EEEENSS_IJLi1EEEENSS_IJLi2EEEENSS_IJLi3EEEENSS_IJLi4EEEENSS_IJLi5EEEENSS_IJLi6EEEENSS_IJLi7ELi9EEEENSS_IJLi8ELi10EEEENSS_IJLi11EEEENSS_IJLi12EEEENSS_IJLi14EEEENSS_IJLi13EEEEEEENS5_IJNSS_IJLi1ELi2ELi3EEEESX_SY_SZ_NSS_IJLi7EEEENSS_IJLi8ELi9EEEENSS_IJLi10EEEES12_S13_S15_S14_NSS_IJLi15ELi16EEEENSS_IJLi17EEEEEEENSS_IJLi15ELi17ELi16EEEElEENSB_INS5_IJSQ_SO_SO_SQ_SG_EEENS5_IJST_SU_SV_SX_SW_EEENS5_IJNSS_IJLi1ELi2EEEESW_SX_NSS_IJLi5ELi6EEEES18_EEENSS_IJLi5ELi7ELi6EEEElEENSB_INS5_IJSK_SO_SO_EEENS5_IJST_SU_SV_EEENS5_IJS1I_SW_SX_EEENSS_IJLi3ELi4EEEElEELi128ELi128ELi16ELi2ELi4ELi4ELi1ENSS_IJLi8ELi2EEEES1S_NSS_IJLi8ELi1ELi1ELi2EEEENSS_IJLi2ELi1ELi128ELi1EEEENSS_IJLi1ELi2ELi0ELi3EEEES1V_NSS_IJLi4ELi1ELi1ELi2EEEES1V_NSS_IJLi1ELi1ELi1ELi2EEEES1T_S1U_S1V_S1V_S1W_S1V_S1X_NSS_IJLi0ELi1ELi2ELi3ELi4ELi5EEEELi5ELi4EEEDF16_NS5_IJPKDF16_EEEDF16_S8_S8_S9_NSB_INS5_IJSE_SG_SI_SG_SG_SK_SG_SM_SM_SO_SO_SQ_SG_SG_NSP_INS5_IJiNS_17integral_constantIiLi128EEEEEELb0EEENSF_INS23_IiLi2EEEEEEEENS5_IJST_SU_SV_SW_SX_SY_SZ_S10_S11_S12_S13_S14_S15_NSS_IJLi15EEEES1C_NSS_IJLi16EEEEEEENS5_IJS17_SX_SY_SZ_S18_S19_S1A_S12_S13_S15_S14_S1B_S1C_NSS_IJLi18EEEENSS_IJLi19ELi20EEEENSS_IJLi21EEEEEEENSS_IJLi18ELi19ELi20ELi21EEEElEENSB_INS5_IJSQ_SO_SO_SQ_SG_SG_S26_S28_EEENS5_IJST_SU_SV_SX_SW_SY_S18_SZ_EEENS5_IJS1I_SW_SX_S1J_S18_NSS_IJLi8EEEENSS_IJLi9ELi10EEEES12_EEENSS_IJLi8ELi9ELi10ELi11EEEElEENS5_IJNSB_INS5_IJSK_SO_SO_NSP_INS5_IJiS27_NS23_IiLi64EEEEEELb0EEES2S_EEENS5_IJST_SU_SV_SW_SX_EEENS5_IJS1I_SW_SX_NSS_IJLi5ELi6ELi7EEEENSS_IJLi8ELi9ELi10EEEEEEENSS_IJLi5ELi6ELi7ELi8ELi9ELi10EEEElEEEEES2Z_NS_31BlockToCTileMap_M00_N00_M01_N01ILi128ELi128ES1R_Lb0EEENS1_30ComputePtrOffsetOfStridedBatchILi1ELi1ELi1EvEELb1ELb0EEEvPKT0_S37_T1_PT2_T3_T4_T5_iT6_T7_T8_T9_T10_T11_.num_agpr, 0
	.set _ZN2ck16tensor_operation6device12_GLOBAL__N_137kernel_grouped_conv_fwd_dl_multiple_dINS_32GridwiseGemmDlMultipleD_km_kn_mnILi256EDF16_fNS_5TupleIJDF16_EEEDF16_NS0_12element_wise11PassThroughES8_NS7_7AddReluELNS_25InMemoryDataOperationEnumE0ENS_16TensorDescriptorINS5_IJNS_5EmbedINS5_IJiiiEEESD_Lb0EEENS_11PassThroughIiEENS_3PadIiiiLb0EEESG_SG_NSC_INS5_IJiiEEESJ_Lb0EEESG_NS_23Merge_v2_magic_divisionISJ_EESM_NS_8RightPadIiiLb0EEESO_NS_7UnMergeISJ_Lb0EEESG_EEENS5_IJNS_8SequenceIJLi0EEEENSS_IJLi1EEEENSS_IJLi2EEEENSS_IJLi3EEEENSS_IJLi4EEEENSS_IJLi5EEEENSS_IJLi6EEEENSS_IJLi7ELi9EEEENSS_IJLi8ELi10EEEENSS_IJLi11EEEENSS_IJLi12EEEENSS_IJLi14EEEENSS_IJLi13EEEEEEENS5_IJNSS_IJLi1ELi2ELi3EEEESX_SY_SZ_NSS_IJLi7EEEENSS_IJLi8ELi9EEEENSS_IJLi10EEEES12_S13_S15_S14_NSS_IJLi15ELi16EEEENSS_IJLi17EEEEEEENSS_IJLi15ELi17ELi16EEEElEENSB_INS5_IJSQ_SO_SO_SQ_SG_EEENS5_IJST_SU_SV_SX_SW_EEENS5_IJNSS_IJLi1ELi2EEEESW_SX_NSS_IJLi5ELi6EEEES18_EEENSS_IJLi5ELi7ELi6EEEElEENSB_INS5_IJSK_SO_SO_EEENS5_IJST_SU_SV_EEENS5_IJS1I_SW_SX_EEENSS_IJLi3ELi4EEEElEELi128ELi128ELi16ELi2ELi4ELi4ELi1ENSS_IJLi8ELi2EEEES1S_NSS_IJLi8ELi1ELi1ELi2EEEENSS_IJLi2ELi1ELi128ELi1EEEENSS_IJLi1ELi2ELi0ELi3EEEES1V_NSS_IJLi4ELi1ELi1ELi2EEEES1V_NSS_IJLi1ELi1ELi1ELi2EEEES1T_S1U_S1V_S1V_S1W_S1V_S1X_NSS_IJLi0ELi1ELi2ELi3ELi4ELi5EEEELi5ELi4EEEDF16_NS5_IJPKDF16_EEEDF16_S8_S8_S9_NSB_INS5_IJSE_SG_SI_SG_SG_SK_SG_SM_SM_SO_SO_SQ_SG_SG_NSP_INS5_IJiNS_17integral_constantIiLi128EEEEEELb0EEENSF_INS23_IiLi2EEEEEEEENS5_IJST_SU_SV_SW_SX_SY_SZ_S10_S11_S12_S13_S14_S15_NSS_IJLi15EEEES1C_NSS_IJLi16EEEEEEENS5_IJS17_SX_SY_SZ_S18_S19_S1A_S12_S13_S15_S14_S1B_S1C_NSS_IJLi18EEEENSS_IJLi19ELi20EEEENSS_IJLi21EEEEEEENSS_IJLi18ELi19ELi20ELi21EEEElEENSB_INS5_IJSQ_SO_SO_SQ_SG_SG_S26_S28_EEENS5_IJST_SU_SV_SX_SW_SY_S18_SZ_EEENS5_IJS1I_SW_SX_S1J_S18_NSS_IJLi8EEEENSS_IJLi9ELi10EEEES12_EEENSS_IJLi8ELi9ELi10ELi11EEEElEENS5_IJNSB_INS5_IJSK_SO_SO_NSP_INS5_IJiS27_NS23_IiLi64EEEEEELb0EEES2S_EEENS5_IJST_SU_SV_SW_SX_EEENS5_IJS1I_SW_SX_NSS_IJLi5ELi6ELi7EEEENSS_IJLi8ELi9ELi10EEEEEEENSS_IJLi5ELi6ELi7ELi8ELi9ELi10EEEElEEEEES2Z_NS_31BlockToCTileMap_M00_N00_M01_N01ILi128ELi128ES1R_Lb0EEENS1_30ComputePtrOffsetOfStridedBatchILi1ELi1ELi1EvEELb1ELb0EEEvPKT0_S37_T1_PT2_T3_T4_T5_iT6_T7_T8_T9_T10_T11_.numbered_sgpr, 64
	.set _ZN2ck16tensor_operation6device12_GLOBAL__N_137kernel_grouped_conv_fwd_dl_multiple_dINS_32GridwiseGemmDlMultipleD_km_kn_mnILi256EDF16_fNS_5TupleIJDF16_EEEDF16_NS0_12element_wise11PassThroughES8_NS7_7AddReluELNS_25InMemoryDataOperationEnumE0ENS_16TensorDescriptorINS5_IJNS_5EmbedINS5_IJiiiEEESD_Lb0EEENS_11PassThroughIiEENS_3PadIiiiLb0EEESG_SG_NSC_INS5_IJiiEEESJ_Lb0EEESG_NS_23Merge_v2_magic_divisionISJ_EESM_NS_8RightPadIiiLb0EEESO_NS_7UnMergeISJ_Lb0EEESG_EEENS5_IJNS_8SequenceIJLi0EEEENSS_IJLi1EEEENSS_IJLi2EEEENSS_IJLi3EEEENSS_IJLi4EEEENSS_IJLi5EEEENSS_IJLi6EEEENSS_IJLi7ELi9EEEENSS_IJLi8ELi10EEEENSS_IJLi11EEEENSS_IJLi12EEEENSS_IJLi14EEEENSS_IJLi13EEEEEEENS5_IJNSS_IJLi1ELi2ELi3EEEESX_SY_SZ_NSS_IJLi7EEEENSS_IJLi8ELi9EEEENSS_IJLi10EEEES12_S13_S15_S14_NSS_IJLi15ELi16EEEENSS_IJLi17EEEEEEENSS_IJLi15ELi17ELi16EEEElEENSB_INS5_IJSQ_SO_SO_SQ_SG_EEENS5_IJST_SU_SV_SX_SW_EEENS5_IJNSS_IJLi1ELi2EEEESW_SX_NSS_IJLi5ELi6EEEES18_EEENSS_IJLi5ELi7ELi6EEEElEENSB_INS5_IJSK_SO_SO_EEENS5_IJST_SU_SV_EEENS5_IJS1I_SW_SX_EEENSS_IJLi3ELi4EEEElEELi128ELi128ELi16ELi2ELi4ELi4ELi1ENSS_IJLi8ELi2EEEES1S_NSS_IJLi8ELi1ELi1ELi2EEEENSS_IJLi2ELi1ELi128ELi1EEEENSS_IJLi1ELi2ELi0ELi3EEEES1V_NSS_IJLi4ELi1ELi1ELi2EEEES1V_NSS_IJLi1ELi1ELi1ELi2EEEES1T_S1U_S1V_S1V_S1W_S1V_S1X_NSS_IJLi0ELi1ELi2ELi3ELi4ELi5EEEELi5ELi4EEEDF16_NS5_IJPKDF16_EEEDF16_S8_S8_S9_NSB_INS5_IJSE_SG_SI_SG_SG_SK_SG_SM_SM_SO_SO_SQ_SG_SG_NSP_INS5_IJiNS_17integral_constantIiLi128EEEEEELb0EEENSF_INS23_IiLi2EEEEEEEENS5_IJST_SU_SV_SW_SX_SY_SZ_S10_S11_S12_S13_S14_S15_NSS_IJLi15EEEES1C_NSS_IJLi16EEEEEEENS5_IJS17_SX_SY_SZ_S18_S19_S1A_S12_S13_S15_S14_S1B_S1C_NSS_IJLi18EEEENSS_IJLi19ELi20EEEENSS_IJLi21EEEEEEENSS_IJLi18ELi19ELi20ELi21EEEElEENSB_INS5_IJSQ_SO_SO_SQ_SG_SG_S26_S28_EEENS5_IJST_SU_SV_SX_SW_SY_S18_SZ_EEENS5_IJS1I_SW_SX_S1J_S18_NSS_IJLi8EEEENSS_IJLi9ELi10EEEES12_EEENSS_IJLi8ELi9ELi10ELi11EEEElEENS5_IJNSB_INS5_IJSK_SO_SO_NSP_INS5_IJiS27_NS23_IiLi64EEEEEELb0EEES2S_EEENS5_IJST_SU_SV_SW_SX_EEENS5_IJS1I_SW_SX_NSS_IJLi5ELi6ELi7EEEENSS_IJLi8ELi9ELi10EEEEEEENSS_IJLi5ELi6ELi7ELi8ELi9ELi10EEEElEEEEES2Z_NS_31BlockToCTileMap_M00_N00_M01_N01ILi128ELi128ES1R_Lb0EEENS1_30ComputePtrOffsetOfStridedBatchILi1ELi1ELi1EvEELb1ELb0EEEvPKT0_S37_T1_PT2_T3_T4_T5_iT6_T7_T8_T9_T10_T11_.num_named_barrier, 0
	.set _ZN2ck16tensor_operation6device12_GLOBAL__N_137kernel_grouped_conv_fwd_dl_multiple_dINS_32GridwiseGemmDlMultipleD_km_kn_mnILi256EDF16_fNS_5TupleIJDF16_EEEDF16_NS0_12element_wise11PassThroughES8_NS7_7AddReluELNS_25InMemoryDataOperationEnumE0ENS_16TensorDescriptorINS5_IJNS_5EmbedINS5_IJiiiEEESD_Lb0EEENS_11PassThroughIiEENS_3PadIiiiLb0EEESG_SG_NSC_INS5_IJiiEEESJ_Lb0EEESG_NS_23Merge_v2_magic_divisionISJ_EESM_NS_8RightPadIiiLb0EEESO_NS_7UnMergeISJ_Lb0EEESG_EEENS5_IJNS_8SequenceIJLi0EEEENSS_IJLi1EEEENSS_IJLi2EEEENSS_IJLi3EEEENSS_IJLi4EEEENSS_IJLi5EEEENSS_IJLi6EEEENSS_IJLi7ELi9EEEENSS_IJLi8ELi10EEEENSS_IJLi11EEEENSS_IJLi12EEEENSS_IJLi14EEEENSS_IJLi13EEEEEEENS5_IJNSS_IJLi1ELi2ELi3EEEESX_SY_SZ_NSS_IJLi7EEEENSS_IJLi8ELi9EEEENSS_IJLi10EEEES12_S13_S15_S14_NSS_IJLi15ELi16EEEENSS_IJLi17EEEEEEENSS_IJLi15ELi17ELi16EEEElEENSB_INS5_IJSQ_SO_SO_SQ_SG_EEENS5_IJST_SU_SV_SX_SW_EEENS5_IJNSS_IJLi1ELi2EEEESW_SX_NSS_IJLi5ELi6EEEES18_EEENSS_IJLi5ELi7ELi6EEEElEENSB_INS5_IJSK_SO_SO_EEENS5_IJST_SU_SV_EEENS5_IJS1I_SW_SX_EEENSS_IJLi3ELi4EEEElEELi128ELi128ELi16ELi2ELi4ELi4ELi1ENSS_IJLi8ELi2EEEES1S_NSS_IJLi8ELi1ELi1ELi2EEEENSS_IJLi2ELi1ELi128ELi1EEEENSS_IJLi1ELi2ELi0ELi3EEEES1V_NSS_IJLi4ELi1ELi1ELi2EEEES1V_NSS_IJLi1ELi1ELi1ELi2EEEES1T_S1U_S1V_S1V_S1W_S1V_S1X_NSS_IJLi0ELi1ELi2ELi3ELi4ELi5EEEELi5ELi4EEEDF16_NS5_IJPKDF16_EEEDF16_S8_S8_S9_NSB_INS5_IJSE_SG_SI_SG_SG_SK_SG_SM_SM_SO_SO_SQ_SG_SG_NSP_INS5_IJiNS_17integral_constantIiLi128EEEEEELb0EEENSF_INS23_IiLi2EEEEEEEENS5_IJST_SU_SV_SW_SX_SY_SZ_S10_S11_S12_S13_S14_S15_NSS_IJLi15EEEES1C_NSS_IJLi16EEEEEEENS5_IJS17_SX_SY_SZ_S18_S19_S1A_S12_S13_S15_S14_S1B_S1C_NSS_IJLi18EEEENSS_IJLi19ELi20EEEENSS_IJLi21EEEEEEENSS_IJLi18ELi19ELi20ELi21EEEElEENSB_INS5_IJSQ_SO_SO_SQ_SG_SG_S26_S28_EEENS5_IJST_SU_SV_SX_SW_SY_S18_SZ_EEENS5_IJS1I_SW_SX_S1J_S18_NSS_IJLi8EEEENSS_IJLi9ELi10EEEES12_EEENSS_IJLi8ELi9ELi10ELi11EEEElEENS5_IJNSB_INS5_IJSK_SO_SO_NSP_INS5_IJiS27_NS23_IiLi64EEEEEELb0EEES2S_EEENS5_IJST_SU_SV_SW_SX_EEENS5_IJS1I_SW_SX_NSS_IJLi5ELi6ELi7EEEENSS_IJLi8ELi9ELi10EEEEEEENSS_IJLi5ELi6ELi7ELi8ELi9ELi10EEEElEEEEES2Z_NS_31BlockToCTileMap_M00_N00_M01_N01ILi128ELi128ES1R_Lb0EEENS1_30ComputePtrOffsetOfStridedBatchILi1ELi1ELi1EvEELb1ELb0EEEvPKT0_S37_T1_PT2_T3_T4_T5_iT6_T7_T8_T9_T10_T11_.private_seg_size, 140
	.set _ZN2ck16tensor_operation6device12_GLOBAL__N_137kernel_grouped_conv_fwd_dl_multiple_dINS_32GridwiseGemmDlMultipleD_km_kn_mnILi256EDF16_fNS_5TupleIJDF16_EEEDF16_NS0_12element_wise11PassThroughES8_NS7_7AddReluELNS_25InMemoryDataOperationEnumE0ENS_16TensorDescriptorINS5_IJNS_5EmbedINS5_IJiiiEEESD_Lb0EEENS_11PassThroughIiEENS_3PadIiiiLb0EEESG_SG_NSC_INS5_IJiiEEESJ_Lb0EEESG_NS_23Merge_v2_magic_divisionISJ_EESM_NS_8RightPadIiiLb0EEESO_NS_7UnMergeISJ_Lb0EEESG_EEENS5_IJNS_8SequenceIJLi0EEEENSS_IJLi1EEEENSS_IJLi2EEEENSS_IJLi3EEEENSS_IJLi4EEEENSS_IJLi5EEEENSS_IJLi6EEEENSS_IJLi7ELi9EEEENSS_IJLi8ELi10EEEENSS_IJLi11EEEENSS_IJLi12EEEENSS_IJLi14EEEENSS_IJLi13EEEEEEENS5_IJNSS_IJLi1ELi2ELi3EEEESX_SY_SZ_NSS_IJLi7EEEENSS_IJLi8ELi9EEEENSS_IJLi10EEEES12_S13_S15_S14_NSS_IJLi15ELi16EEEENSS_IJLi17EEEEEEENSS_IJLi15ELi17ELi16EEEElEENSB_INS5_IJSQ_SO_SO_SQ_SG_EEENS5_IJST_SU_SV_SX_SW_EEENS5_IJNSS_IJLi1ELi2EEEESW_SX_NSS_IJLi5ELi6EEEES18_EEENSS_IJLi5ELi7ELi6EEEElEENSB_INS5_IJSK_SO_SO_EEENS5_IJST_SU_SV_EEENS5_IJS1I_SW_SX_EEENSS_IJLi3ELi4EEEElEELi128ELi128ELi16ELi2ELi4ELi4ELi1ENSS_IJLi8ELi2EEEES1S_NSS_IJLi8ELi1ELi1ELi2EEEENSS_IJLi2ELi1ELi128ELi1EEEENSS_IJLi1ELi2ELi0ELi3EEEES1V_NSS_IJLi4ELi1ELi1ELi2EEEES1V_NSS_IJLi1ELi1ELi1ELi2EEEES1T_S1U_S1V_S1V_S1W_S1V_S1X_NSS_IJLi0ELi1ELi2ELi3ELi4ELi5EEEELi5ELi4EEEDF16_NS5_IJPKDF16_EEEDF16_S8_S8_S9_NSB_INS5_IJSE_SG_SI_SG_SG_SK_SG_SM_SM_SO_SO_SQ_SG_SG_NSP_INS5_IJiNS_17integral_constantIiLi128EEEEEELb0EEENSF_INS23_IiLi2EEEEEEEENS5_IJST_SU_SV_SW_SX_SY_SZ_S10_S11_S12_S13_S14_S15_NSS_IJLi15EEEES1C_NSS_IJLi16EEEEEEENS5_IJS17_SX_SY_SZ_S18_S19_S1A_S12_S13_S15_S14_S1B_S1C_NSS_IJLi18EEEENSS_IJLi19ELi20EEEENSS_IJLi21EEEEEEENSS_IJLi18ELi19ELi20ELi21EEEElEENSB_INS5_IJSQ_SO_SO_SQ_SG_SG_S26_S28_EEENS5_IJST_SU_SV_SX_SW_SY_S18_SZ_EEENS5_IJS1I_SW_SX_S1J_S18_NSS_IJLi8EEEENSS_IJLi9ELi10EEEES12_EEENSS_IJLi8ELi9ELi10ELi11EEEElEENS5_IJNSB_INS5_IJSK_SO_SO_NSP_INS5_IJiS27_NS23_IiLi64EEEEEELb0EEES2S_EEENS5_IJST_SU_SV_SW_SX_EEENS5_IJS1I_SW_SX_NSS_IJLi5ELi6ELi7EEEENSS_IJLi8ELi9ELi10EEEEEEENSS_IJLi5ELi6ELi7ELi8ELi9ELi10EEEElEEEEES2Z_NS_31BlockToCTileMap_M00_N00_M01_N01ILi128ELi128ES1R_Lb0EEENS1_30ComputePtrOffsetOfStridedBatchILi1ELi1ELi1EvEELb1ELb0EEEvPKT0_S37_T1_PT2_T3_T4_T5_iT6_T7_T8_T9_T10_T11_.uses_vcc, 1
	.set _ZN2ck16tensor_operation6device12_GLOBAL__N_137kernel_grouped_conv_fwd_dl_multiple_dINS_32GridwiseGemmDlMultipleD_km_kn_mnILi256EDF16_fNS_5TupleIJDF16_EEEDF16_NS0_12element_wise11PassThroughES8_NS7_7AddReluELNS_25InMemoryDataOperationEnumE0ENS_16TensorDescriptorINS5_IJNS_5EmbedINS5_IJiiiEEESD_Lb0EEENS_11PassThroughIiEENS_3PadIiiiLb0EEESG_SG_NSC_INS5_IJiiEEESJ_Lb0EEESG_NS_23Merge_v2_magic_divisionISJ_EESM_NS_8RightPadIiiLb0EEESO_NS_7UnMergeISJ_Lb0EEESG_EEENS5_IJNS_8SequenceIJLi0EEEENSS_IJLi1EEEENSS_IJLi2EEEENSS_IJLi3EEEENSS_IJLi4EEEENSS_IJLi5EEEENSS_IJLi6EEEENSS_IJLi7ELi9EEEENSS_IJLi8ELi10EEEENSS_IJLi11EEEENSS_IJLi12EEEENSS_IJLi14EEEENSS_IJLi13EEEEEEENS5_IJNSS_IJLi1ELi2ELi3EEEESX_SY_SZ_NSS_IJLi7EEEENSS_IJLi8ELi9EEEENSS_IJLi10EEEES12_S13_S15_S14_NSS_IJLi15ELi16EEEENSS_IJLi17EEEEEEENSS_IJLi15ELi17ELi16EEEElEENSB_INS5_IJSQ_SO_SO_SQ_SG_EEENS5_IJST_SU_SV_SX_SW_EEENS5_IJNSS_IJLi1ELi2EEEESW_SX_NSS_IJLi5ELi6EEEES18_EEENSS_IJLi5ELi7ELi6EEEElEENSB_INS5_IJSK_SO_SO_EEENS5_IJST_SU_SV_EEENS5_IJS1I_SW_SX_EEENSS_IJLi3ELi4EEEElEELi128ELi128ELi16ELi2ELi4ELi4ELi1ENSS_IJLi8ELi2EEEES1S_NSS_IJLi8ELi1ELi1ELi2EEEENSS_IJLi2ELi1ELi128ELi1EEEENSS_IJLi1ELi2ELi0ELi3EEEES1V_NSS_IJLi4ELi1ELi1ELi2EEEES1V_NSS_IJLi1ELi1ELi1ELi2EEEES1T_S1U_S1V_S1V_S1W_S1V_S1X_NSS_IJLi0ELi1ELi2ELi3ELi4ELi5EEEELi5ELi4EEEDF16_NS5_IJPKDF16_EEEDF16_S8_S8_S9_NSB_INS5_IJSE_SG_SI_SG_SG_SK_SG_SM_SM_SO_SO_SQ_SG_SG_NSP_INS5_IJiNS_17integral_constantIiLi128EEEEEELb0EEENSF_INS23_IiLi2EEEEEEEENS5_IJST_SU_SV_SW_SX_SY_SZ_S10_S11_S12_S13_S14_S15_NSS_IJLi15EEEES1C_NSS_IJLi16EEEEEEENS5_IJS17_SX_SY_SZ_S18_S19_S1A_S12_S13_S15_S14_S1B_S1C_NSS_IJLi18EEEENSS_IJLi19ELi20EEEENSS_IJLi21EEEEEEENSS_IJLi18ELi19ELi20ELi21EEEElEENSB_INS5_IJSQ_SO_SO_SQ_SG_SG_S26_S28_EEENS5_IJST_SU_SV_SX_SW_SY_S18_SZ_EEENS5_IJS1I_SW_SX_S1J_S18_NSS_IJLi8EEEENSS_IJLi9ELi10EEEES12_EEENSS_IJLi8ELi9ELi10ELi11EEEElEENS5_IJNSB_INS5_IJSK_SO_SO_NSP_INS5_IJiS27_NS23_IiLi64EEEEEELb0EEES2S_EEENS5_IJST_SU_SV_SW_SX_EEENS5_IJS1I_SW_SX_NSS_IJLi5ELi6ELi7EEEENSS_IJLi8ELi9ELi10EEEEEEENSS_IJLi5ELi6ELi7ELi8ELi9ELi10EEEElEEEEES2Z_NS_31BlockToCTileMap_M00_N00_M01_N01ILi128ELi128ES1R_Lb0EEENS1_30ComputePtrOffsetOfStridedBatchILi1ELi1ELi1EvEELb1ELb0EEEvPKT0_S37_T1_PT2_T3_T4_T5_iT6_T7_T8_T9_T10_T11_.uses_flat_scratch, 0
	.set _ZN2ck16tensor_operation6device12_GLOBAL__N_137kernel_grouped_conv_fwd_dl_multiple_dINS_32GridwiseGemmDlMultipleD_km_kn_mnILi256EDF16_fNS_5TupleIJDF16_EEEDF16_NS0_12element_wise11PassThroughES8_NS7_7AddReluELNS_25InMemoryDataOperationEnumE0ENS_16TensorDescriptorINS5_IJNS_5EmbedINS5_IJiiiEEESD_Lb0EEENS_11PassThroughIiEENS_3PadIiiiLb0EEESG_SG_NSC_INS5_IJiiEEESJ_Lb0EEESG_NS_23Merge_v2_magic_divisionISJ_EESM_NS_8RightPadIiiLb0EEESO_NS_7UnMergeISJ_Lb0EEESG_EEENS5_IJNS_8SequenceIJLi0EEEENSS_IJLi1EEEENSS_IJLi2EEEENSS_IJLi3EEEENSS_IJLi4EEEENSS_IJLi5EEEENSS_IJLi6EEEENSS_IJLi7ELi9EEEENSS_IJLi8ELi10EEEENSS_IJLi11EEEENSS_IJLi12EEEENSS_IJLi14EEEENSS_IJLi13EEEEEEENS5_IJNSS_IJLi1ELi2ELi3EEEESX_SY_SZ_NSS_IJLi7EEEENSS_IJLi8ELi9EEEENSS_IJLi10EEEES12_S13_S15_S14_NSS_IJLi15ELi16EEEENSS_IJLi17EEEEEEENSS_IJLi15ELi17ELi16EEEElEENSB_INS5_IJSQ_SO_SO_SQ_SG_EEENS5_IJST_SU_SV_SX_SW_EEENS5_IJNSS_IJLi1ELi2EEEESW_SX_NSS_IJLi5ELi6EEEES18_EEENSS_IJLi5ELi7ELi6EEEElEENSB_INS5_IJSK_SO_SO_EEENS5_IJST_SU_SV_EEENS5_IJS1I_SW_SX_EEENSS_IJLi3ELi4EEEElEELi128ELi128ELi16ELi2ELi4ELi4ELi1ENSS_IJLi8ELi2EEEES1S_NSS_IJLi8ELi1ELi1ELi2EEEENSS_IJLi2ELi1ELi128ELi1EEEENSS_IJLi1ELi2ELi0ELi3EEEES1V_NSS_IJLi4ELi1ELi1ELi2EEEES1V_NSS_IJLi1ELi1ELi1ELi2EEEES1T_S1U_S1V_S1V_S1W_S1V_S1X_NSS_IJLi0ELi1ELi2ELi3ELi4ELi5EEEELi5ELi4EEEDF16_NS5_IJPKDF16_EEEDF16_S8_S8_S9_NSB_INS5_IJSE_SG_SI_SG_SG_SK_SG_SM_SM_SO_SO_SQ_SG_SG_NSP_INS5_IJiNS_17integral_constantIiLi128EEEEEELb0EEENSF_INS23_IiLi2EEEEEEEENS5_IJST_SU_SV_SW_SX_SY_SZ_S10_S11_S12_S13_S14_S15_NSS_IJLi15EEEES1C_NSS_IJLi16EEEEEEENS5_IJS17_SX_SY_SZ_S18_S19_S1A_S12_S13_S15_S14_S1B_S1C_NSS_IJLi18EEEENSS_IJLi19ELi20EEEENSS_IJLi21EEEEEEENSS_IJLi18ELi19ELi20ELi21EEEElEENSB_INS5_IJSQ_SO_SO_SQ_SG_SG_S26_S28_EEENS5_IJST_SU_SV_SX_SW_SY_S18_SZ_EEENS5_IJS1I_SW_SX_S1J_S18_NSS_IJLi8EEEENSS_IJLi9ELi10EEEES12_EEENSS_IJLi8ELi9ELi10ELi11EEEElEENS5_IJNSB_INS5_IJSK_SO_SO_NSP_INS5_IJiS27_NS23_IiLi64EEEEEELb0EEES2S_EEENS5_IJST_SU_SV_SW_SX_EEENS5_IJS1I_SW_SX_NSS_IJLi5ELi6ELi7EEEENSS_IJLi8ELi9ELi10EEEEEEENSS_IJLi5ELi6ELi7ELi8ELi9ELi10EEEElEEEEES2Z_NS_31BlockToCTileMap_M00_N00_M01_N01ILi128ELi128ES1R_Lb0EEENS1_30ComputePtrOffsetOfStridedBatchILi1ELi1ELi1EvEELb1ELb0EEEvPKT0_S37_T1_PT2_T3_T4_T5_iT6_T7_T8_T9_T10_T11_.has_dyn_sized_stack, 0
	.set _ZN2ck16tensor_operation6device12_GLOBAL__N_137kernel_grouped_conv_fwd_dl_multiple_dINS_32GridwiseGemmDlMultipleD_km_kn_mnILi256EDF16_fNS_5TupleIJDF16_EEEDF16_NS0_12element_wise11PassThroughES8_NS7_7AddReluELNS_25InMemoryDataOperationEnumE0ENS_16TensorDescriptorINS5_IJNS_5EmbedINS5_IJiiiEEESD_Lb0EEENS_11PassThroughIiEENS_3PadIiiiLb0EEESG_SG_NSC_INS5_IJiiEEESJ_Lb0EEESG_NS_23Merge_v2_magic_divisionISJ_EESM_NS_8RightPadIiiLb0EEESO_NS_7UnMergeISJ_Lb0EEESG_EEENS5_IJNS_8SequenceIJLi0EEEENSS_IJLi1EEEENSS_IJLi2EEEENSS_IJLi3EEEENSS_IJLi4EEEENSS_IJLi5EEEENSS_IJLi6EEEENSS_IJLi7ELi9EEEENSS_IJLi8ELi10EEEENSS_IJLi11EEEENSS_IJLi12EEEENSS_IJLi14EEEENSS_IJLi13EEEEEEENS5_IJNSS_IJLi1ELi2ELi3EEEESX_SY_SZ_NSS_IJLi7EEEENSS_IJLi8ELi9EEEENSS_IJLi10EEEES12_S13_S15_S14_NSS_IJLi15ELi16EEEENSS_IJLi17EEEEEEENSS_IJLi15ELi17ELi16EEEElEENSB_INS5_IJSQ_SO_SO_SQ_SG_EEENS5_IJST_SU_SV_SX_SW_EEENS5_IJNSS_IJLi1ELi2EEEESW_SX_NSS_IJLi5ELi6EEEES18_EEENSS_IJLi5ELi7ELi6EEEElEENSB_INS5_IJSK_SO_SO_EEENS5_IJST_SU_SV_EEENS5_IJS1I_SW_SX_EEENSS_IJLi3ELi4EEEElEELi128ELi128ELi16ELi2ELi4ELi4ELi1ENSS_IJLi8ELi2EEEES1S_NSS_IJLi8ELi1ELi1ELi2EEEENSS_IJLi2ELi1ELi128ELi1EEEENSS_IJLi1ELi2ELi0ELi3EEEES1V_NSS_IJLi4ELi1ELi1ELi2EEEES1V_NSS_IJLi1ELi1ELi1ELi2EEEES1T_S1U_S1V_S1V_S1W_S1V_S1X_NSS_IJLi0ELi1ELi2ELi3ELi4ELi5EEEELi5ELi4EEEDF16_NS5_IJPKDF16_EEEDF16_S8_S8_S9_NSB_INS5_IJSE_SG_SI_SG_SG_SK_SG_SM_SM_SO_SO_SQ_SG_SG_NSP_INS5_IJiNS_17integral_constantIiLi128EEEEEELb0EEENSF_INS23_IiLi2EEEEEEEENS5_IJST_SU_SV_SW_SX_SY_SZ_S10_S11_S12_S13_S14_S15_NSS_IJLi15EEEES1C_NSS_IJLi16EEEEEEENS5_IJS17_SX_SY_SZ_S18_S19_S1A_S12_S13_S15_S14_S1B_S1C_NSS_IJLi18EEEENSS_IJLi19ELi20EEEENSS_IJLi21EEEEEEENSS_IJLi18ELi19ELi20ELi21EEEElEENSB_INS5_IJSQ_SO_SO_SQ_SG_SG_S26_S28_EEENS5_IJST_SU_SV_SX_SW_SY_S18_SZ_EEENS5_IJS1I_SW_SX_S1J_S18_NSS_IJLi8EEEENSS_IJLi9ELi10EEEES12_EEENSS_IJLi8ELi9ELi10ELi11EEEElEENS5_IJNSB_INS5_IJSK_SO_SO_NSP_INS5_IJiS27_NS23_IiLi64EEEEEELb0EEES2S_EEENS5_IJST_SU_SV_SW_SX_EEENS5_IJS1I_SW_SX_NSS_IJLi5ELi6ELi7EEEENSS_IJLi8ELi9ELi10EEEEEEENSS_IJLi5ELi6ELi7ELi8ELi9ELi10EEEElEEEEES2Z_NS_31BlockToCTileMap_M00_N00_M01_N01ILi128ELi128ES1R_Lb0EEENS1_30ComputePtrOffsetOfStridedBatchILi1ELi1ELi1EvEELb1ELb0EEEvPKT0_S37_T1_PT2_T3_T4_T5_iT6_T7_T8_T9_T10_T11_.has_recursion, 0
	.set _ZN2ck16tensor_operation6device12_GLOBAL__N_137kernel_grouped_conv_fwd_dl_multiple_dINS_32GridwiseGemmDlMultipleD_km_kn_mnILi256EDF16_fNS_5TupleIJDF16_EEEDF16_NS0_12element_wise11PassThroughES8_NS7_7AddReluELNS_25InMemoryDataOperationEnumE0ENS_16TensorDescriptorINS5_IJNS_5EmbedINS5_IJiiiEEESD_Lb0EEENS_11PassThroughIiEENS_3PadIiiiLb0EEESG_SG_NSC_INS5_IJiiEEESJ_Lb0EEESG_NS_23Merge_v2_magic_divisionISJ_EESM_NS_8RightPadIiiLb0EEESO_NS_7UnMergeISJ_Lb0EEESG_EEENS5_IJNS_8SequenceIJLi0EEEENSS_IJLi1EEEENSS_IJLi2EEEENSS_IJLi3EEEENSS_IJLi4EEEENSS_IJLi5EEEENSS_IJLi6EEEENSS_IJLi7ELi9EEEENSS_IJLi8ELi10EEEENSS_IJLi11EEEENSS_IJLi12EEEENSS_IJLi14EEEENSS_IJLi13EEEEEEENS5_IJNSS_IJLi1ELi2ELi3EEEESX_SY_SZ_NSS_IJLi7EEEENSS_IJLi8ELi9EEEENSS_IJLi10EEEES12_S13_S15_S14_NSS_IJLi15ELi16EEEENSS_IJLi17EEEEEEENSS_IJLi15ELi17ELi16EEEElEENSB_INS5_IJSQ_SO_SO_SQ_SG_EEENS5_IJST_SU_SV_SX_SW_EEENS5_IJNSS_IJLi1ELi2EEEESW_SX_NSS_IJLi5ELi6EEEES18_EEENSS_IJLi5ELi7ELi6EEEElEENSB_INS5_IJSK_SO_SO_EEENS5_IJST_SU_SV_EEENS5_IJS1I_SW_SX_EEENSS_IJLi3ELi4EEEElEELi128ELi128ELi16ELi2ELi4ELi4ELi1ENSS_IJLi8ELi2EEEES1S_NSS_IJLi8ELi1ELi1ELi2EEEENSS_IJLi2ELi1ELi128ELi1EEEENSS_IJLi1ELi2ELi0ELi3EEEES1V_NSS_IJLi4ELi1ELi1ELi2EEEES1V_NSS_IJLi1ELi1ELi1ELi2EEEES1T_S1U_S1V_S1V_S1W_S1V_S1X_NSS_IJLi0ELi1ELi2ELi3ELi4ELi5EEEELi5ELi4EEEDF16_NS5_IJPKDF16_EEEDF16_S8_S8_S9_NSB_INS5_IJSE_SG_SI_SG_SG_SK_SG_SM_SM_SO_SO_SQ_SG_SG_NSP_INS5_IJiNS_17integral_constantIiLi128EEEEEELb0EEENSF_INS23_IiLi2EEEEEEEENS5_IJST_SU_SV_SW_SX_SY_SZ_S10_S11_S12_S13_S14_S15_NSS_IJLi15EEEES1C_NSS_IJLi16EEEEEEENS5_IJS17_SX_SY_SZ_S18_S19_S1A_S12_S13_S15_S14_S1B_S1C_NSS_IJLi18EEEENSS_IJLi19ELi20EEEENSS_IJLi21EEEEEEENSS_IJLi18ELi19ELi20ELi21EEEElEENSB_INS5_IJSQ_SO_SO_SQ_SG_SG_S26_S28_EEENS5_IJST_SU_SV_SX_SW_SY_S18_SZ_EEENS5_IJS1I_SW_SX_S1J_S18_NSS_IJLi8EEEENSS_IJLi9ELi10EEEES12_EEENSS_IJLi8ELi9ELi10ELi11EEEElEENS5_IJNSB_INS5_IJSK_SO_SO_NSP_INS5_IJiS27_NS23_IiLi64EEEEEELb0EEES2S_EEENS5_IJST_SU_SV_SW_SX_EEENS5_IJS1I_SW_SX_NSS_IJLi5ELi6ELi7EEEENSS_IJLi8ELi9ELi10EEEEEEENSS_IJLi5ELi6ELi7ELi8ELi9ELi10EEEElEEEEES2Z_NS_31BlockToCTileMap_M00_N00_M01_N01ILi128ELi128ES1R_Lb0EEENS1_30ComputePtrOffsetOfStridedBatchILi1ELi1ELi1EvEELb1ELb0EEEvPKT0_S37_T1_PT2_T3_T4_T5_iT6_T7_T8_T9_T10_T11_.has_indirect_call, 0
	.section	.AMDGPU.csdata,"",@progbits
; Kernel info:
; codeLenInByte = 33296
; TotalNumSgprs: 68
; NumVgprs: 128
; ScratchSize: 140
; MemoryBound: 0
; FloatMode: 240
; IeeeMode: 1
; LDSByteSize: 32768 bytes/workgroup (compile time only)
; SGPRBlocks: 12
; VGPRBlocks: 31
; NumSGPRsForWavesPerEU: 102
; NumVGPRsForWavesPerEU: 128
; Occupancy: 2
; WaveLimiterHint : 0
; COMPUTE_PGM_RSRC2:SCRATCH_EN: 1
; COMPUTE_PGM_RSRC2:USER_SGPR: 6
; COMPUTE_PGM_RSRC2:TRAP_HANDLER: 0
; COMPUTE_PGM_RSRC2:TGID_X_EN: 1
; COMPUTE_PGM_RSRC2:TGID_Y_EN: 0
; COMPUTE_PGM_RSRC2:TGID_Z_EN: 0
; COMPUTE_PGM_RSRC2:TIDIG_COMP_CNT: 0
	.section	.text._ZN2ck16tensor_operation6device12_GLOBAL__N_137kernel_grouped_conv_fwd_dl_multiple_dINS_32GridwiseGemmDlMultipleD_km_kn_mnILi256EDF16_fNS_5TupleIJDF16_EEEDF16_NS0_12element_wise11PassThroughES8_NS7_7AddReluELNS_25InMemoryDataOperationEnumE0ENS_16TensorDescriptorINS5_IJNS_5EmbedINS5_IJiiiEEESD_Lb0EEENS_11PassThroughIiEENS_3PadIiiiLb0EEESG_SG_NSC_INS5_IJiiEEESJ_Lb0EEESG_NS_23Merge_v2_magic_divisionISJ_EESM_NS_8RightPadIiiLb0EEESO_NS_7UnMergeISJ_Lb0EEESG_EEENS5_IJNS_8SequenceIJLi0EEEENSS_IJLi1EEEENSS_IJLi2EEEENSS_IJLi3EEEENSS_IJLi4EEEENSS_IJLi5EEEENSS_IJLi6EEEENSS_IJLi7ELi9EEEENSS_IJLi8ELi10EEEENSS_IJLi11EEEENSS_IJLi12EEEENSS_IJLi14EEEENSS_IJLi13EEEEEEENS5_IJNSS_IJLi1ELi2ELi3EEEESX_SY_SZ_NSS_IJLi7EEEENSS_IJLi8ELi9EEEENSS_IJLi10EEEES12_S13_S15_S14_NSS_IJLi15ELi16EEEENSS_IJLi17EEEEEEENSS_IJLi15ELi17ELi16EEEElEENSB_INS5_IJSQ_SO_SO_SQ_SG_EEENS5_IJST_SU_SV_SX_SW_EEENS5_IJNSS_IJLi1ELi2EEEESW_SX_NSS_IJLi5ELi6EEEES18_EEENSS_IJLi5ELi7ELi6EEEElEENSB_INS5_IJSK_SO_SO_EEENS5_IJST_SU_SV_EEENS5_IJS1I_SW_SX_EEENSS_IJLi3ELi4EEEElEELi128ELi128ELi16ELi2ELi4ELi4ELi1ENSS_IJLi8ELi2EEEES1S_NSS_IJLi8ELi1ELi1ELi2EEEENSS_IJLi2ELi1ELi128ELi1EEEENSS_IJLi1ELi2ELi0ELi3EEEES1V_NSS_IJLi4ELi1ELi1ELi2EEEES1V_NSS_IJLi1ELi1ELi1ELi2EEEES1T_S1U_S1V_S1V_S1W_S1V_S1X_NSS_IJLi0ELi1ELi2ELi3ELi4ELi5EEEELi5ELi4EEEDF16_NS5_IJPKDF16_EEEDF16_S8_S8_S9_NSB_INS5_IJSE_SG_SI_SG_SG_SK_SG_SM_SM_SO_SO_SQ_SG_SG_NSP_INS5_IJiNS_17integral_constantIiLi128EEEEEELb0EEENSF_INS23_IiLi2EEEEEEEENS5_IJST_SU_SV_SW_SX_SY_SZ_S10_S11_S12_S13_S14_S15_NSS_IJLi15EEEES1C_NSS_IJLi16EEEEEEENS5_IJS17_SX_SY_SZ_S18_S19_S1A_S12_S13_S15_S14_S1B_S1C_NSS_IJLi18EEEENSS_IJLi19ELi20EEEENSS_IJLi21EEEEEEENSS_IJLi18ELi19ELi20ELi21EEEElEENSB_INS5_IJSQ_SO_SO_SQ_SG_SG_S26_S28_EEENS5_IJST_SU_SV_SX_SW_SY_S18_SZ_EEENS5_IJS1I_SW_SX_S1J_S18_NSS_IJLi8EEEENSS_IJLi9ELi10EEEES12_EEENSS_IJLi8ELi9ELi10ELi11EEEElEENS5_IJNSB_INS5_IJSK_SO_SO_NSP_INS5_IJiS27_NS23_IiLi64EEEEEELb0EEES2S_EEENS5_IJST_SU_SV_SW_SX_EEENS5_IJS1I_SW_SX_NSS_IJLi5ELi6ELi7EEEENSS_IJLi8ELi9ELi10EEEEEEENSS_IJLi5ELi6ELi7ELi8ELi9ELi10EEEElEEEEES2Z_NS_31BlockToCTileMap_M00_N00_M01_N01ILi128ELi128ES1R_Lb0EEENS1_30ComputePtrOffsetOfStridedBatchILi1ELi1ELi1EvEELb0ELb1EEEvPKT0_S37_T1_PT2_T3_T4_T5_iT6_T7_T8_T9_T10_T11_,"axG",@progbits,_ZN2ck16tensor_operation6device12_GLOBAL__N_137kernel_grouped_conv_fwd_dl_multiple_dINS_32GridwiseGemmDlMultipleD_km_kn_mnILi256EDF16_fNS_5TupleIJDF16_EEEDF16_NS0_12element_wise11PassThroughES8_NS7_7AddReluELNS_25InMemoryDataOperationEnumE0ENS_16TensorDescriptorINS5_IJNS_5EmbedINS5_IJiiiEEESD_Lb0EEENS_11PassThroughIiEENS_3PadIiiiLb0EEESG_SG_NSC_INS5_IJiiEEESJ_Lb0EEESG_NS_23Merge_v2_magic_divisionISJ_EESM_NS_8RightPadIiiLb0EEESO_NS_7UnMergeISJ_Lb0EEESG_EEENS5_IJNS_8SequenceIJLi0EEEENSS_IJLi1EEEENSS_IJLi2EEEENSS_IJLi3EEEENSS_IJLi4EEEENSS_IJLi5EEEENSS_IJLi6EEEENSS_IJLi7ELi9EEEENSS_IJLi8ELi10EEEENSS_IJLi11EEEENSS_IJLi12EEEENSS_IJLi14EEEENSS_IJLi13EEEEEEENS5_IJNSS_IJLi1ELi2ELi3EEEESX_SY_SZ_NSS_IJLi7EEEENSS_IJLi8ELi9EEEENSS_IJLi10EEEES12_S13_S15_S14_NSS_IJLi15ELi16EEEENSS_IJLi17EEEEEEENSS_IJLi15ELi17ELi16EEEElEENSB_INS5_IJSQ_SO_SO_SQ_SG_EEENS5_IJST_SU_SV_SX_SW_EEENS5_IJNSS_IJLi1ELi2EEEESW_SX_NSS_IJLi5ELi6EEEES18_EEENSS_IJLi5ELi7ELi6EEEElEENSB_INS5_IJSK_SO_SO_EEENS5_IJST_SU_SV_EEENS5_IJS1I_SW_SX_EEENSS_IJLi3ELi4EEEElEELi128ELi128ELi16ELi2ELi4ELi4ELi1ENSS_IJLi8ELi2EEEES1S_NSS_IJLi8ELi1ELi1ELi2EEEENSS_IJLi2ELi1ELi128ELi1EEEENSS_IJLi1ELi2ELi0ELi3EEEES1V_NSS_IJLi4ELi1ELi1ELi2EEEES1V_NSS_IJLi1ELi1ELi1ELi2EEEES1T_S1U_S1V_S1V_S1W_S1V_S1X_NSS_IJLi0ELi1ELi2ELi3ELi4ELi5EEEELi5ELi4EEEDF16_NS5_IJPKDF16_EEEDF16_S8_S8_S9_NSB_INS5_IJSE_SG_SI_SG_SG_SK_SG_SM_SM_SO_SO_SQ_SG_SG_NSP_INS5_IJiNS_17integral_constantIiLi128EEEEEELb0EEENSF_INS23_IiLi2EEEEEEEENS5_IJST_SU_SV_SW_SX_SY_SZ_S10_S11_S12_S13_S14_S15_NSS_IJLi15EEEES1C_NSS_IJLi16EEEEEEENS5_IJS17_SX_SY_SZ_S18_S19_S1A_S12_S13_S15_S14_S1B_S1C_NSS_IJLi18EEEENSS_IJLi19ELi20EEEENSS_IJLi21EEEEEEENSS_IJLi18ELi19ELi20ELi21EEEElEENSB_INS5_IJSQ_SO_SO_SQ_SG_SG_S26_S28_EEENS5_IJST_SU_SV_SX_SW_SY_S18_SZ_EEENS5_IJS1I_SW_SX_S1J_S18_NSS_IJLi8EEEENSS_IJLi9ELi10EEEES12_EEENSS_IJLi8ELi9ELi10ELi11EEEElEENS5_IJNSB_INS5_IJSK_SO_SO_NSP_INS5_IJiS27_NS23_IiLi64EEEEEELb0EEES2S_EEENS5_IJST_SU_SV_SW_SX_EEENS5_IJS1I_SW_SX_NSS_IJLi5ELi6ELi7EEEENSS_IJLi8ELi9ELi10EEEEEEENSS_IJLi5ELi6ELi7ELi8ELi9ELi10EEEElEEEEES2Z_NS_31BlockToCTileMap_M00_N00_M01_N01ILi128ELi128ES1R_Lb0EEENS1_30ComputePtrOffsetOfStridedBatchILi1ELi1ELi1EvEELb0ELb1EEEvPKT0_S37_T1_PT2_T3_T4_T5_iT6_T7_T8_T9_T10_T11_,comdat
	.globl	_ZN2ck16tensor_operation6device12_GLOBAL__N_137kernel_grouped_conv_fwd_dl_multiple_dINS_32GridwiseGemmDlMultipleD_km_kn_mnILi256EDF16_fNS_5TupleIJDF16_EEEDF16_NS0_12element_wise11PassThroughES8_NS7_7AddReluELNS_25InMemoryDataOperationEnumE0ENS_16TensorDescriptorINS5_IJNS_5EmbedINS5_IJiiiEEESD_Lb0EEENS_11PassThroughIiEENS_3PadIiiiLb0EEESG_SG_NSC_INS5_IJiiEEESJ_Lb0EEESG_NS_23Merge_v2_magic_divisionISJ_EESM_NS_8RightPadIiiLb0EEESO_NS_7UnMergeISJ_Lb0EEESG_EEENS5_IJNS_8SequenceIJLi0EEEENSS_IJLi1EEEENSS_IJLi2EEEENSS_IJLi3EEEENSS_IJLi4EEEENSS_IJLi5EEEENSS_IJLi6EEEENSS_IJLi7ELi9EEEENSS_IJLi8ELi10EEEENSS_IJLi11EEEENSS_IJLi12EEEENSS_IJLi14EEEENSS_IJLi13EEEEEEENS5_IJNSS_IJLi1ELi2ELi3EEEESX_SY_SZ_NSS_IJLi7EEEENSS_IJLi8ELi9EEEENSS_IJLi10EEEES12_S13_S15_S14_NSS_IJLi15ELi16EEEENSS_IJLi17EEEEEEENSS_IJLi15ELi17ELi16EEEElEENSB_INS5_IJSQ_SO_SO_SQ_SG_EEENS5_IJST_SU_SV_SX_SW_EEENS5_IJNSS_IJLi1ELi2EEEESW_SX_NSS_IJLi5ELi6EEEES18_EEENSS_IJLi5ELi7ELi6EEEElEENSB_INS5_IJSK_SO_SO_EEENS5_IJST_SU_SV_EEENS5_IJS1I_SW_SX_EEENSS_IJLi3ELi4EEEElEELi128ELi128ELi16ELi2ELi4ELi4ELi1ENSS_IJLi8ELi2EEEES1S_NSS_IJLi8ELi1ELi1ELi2EEEENSS_IJLi2ELi1ELi128ELi1EEEENSS_IJLi1ELi2ELi0ELi3EEEES1V_NSS_IJLi4ELi1ELi1ELi2EEEES1V_NSS_IJLi1ELi1ELi1ELi2EEEES1T_S1U_S1V_S1V_S1W_S1V_S1X_NSS_IJLi0ELi1ELi2ELi3ELi4ELi5EEEELi5ELi4EEEDF16_NS5_IJPKDF16_EEEDF16_S8_S8_S9_NSB_INS5_IJSE_SG_SI_SG_SG_SK_SG_SM_SM_SO_SO_SQ_SG_SG_NSP_INS5_IJiNS_17integral_constantIiLi128EEEEEELb0EEENSF_INS23_IiLi2EEEEEEEENS5_IJST_SU_SV_SW_SX_SY_SZ_S10_S11_S12_S13_S14_S15_NSS_IJLi15EEEES1C_NSS_IJLi16EEEEEEENS5_IJS17_SX_SY_SZ_S18_S19_S1A_S12_S13_S15_S14_S1B_S1C_NSS_IJLi18EEEENSS_IJLi19ELi20EEEENSS_IJLi21EEEEEEENSS_IJLi18ELi19ELi20ELi21EEEElEENSB_INS5_IJSQ_SO_SO_SQ_SG_SG_S26_S28_EEENS5_IJST_SU_SV_SX_SW_SY_S18_SZ_EEENS5_IJS1I_SW_SX_S1J_S18_NSS_IJLi8EEEENSS_IJLi9ELi10EEEES12_EEENSS_IJLi8ELi9ELi10ELi11EEEElEENS5_IJNSB_INS5_IJSK_SO_SO_NSP_INS5_IJiS27_NS23_IiLi64EEEEEELb0EEES2S_EEENS5_IJST_SU_SV_SW_SX_EEENS5_IJS1I_SW_SX_NSS_IJLi5ELi6ELi7EEEENSS_IJLi8ELi9ELi10EEEEEEENSS_IJLi5ELi6ELi7ELi8ELi9ELi10EEEElEEEEES2Z_NS_31BlockToCTileMap_M00_N00_M01_N01ILi128ELi128ES1R_Lb0EEENS1_30ComputePtrOffsetOfStridedBatchILi1ELi1ELi1EvEELb0ELb1EEEvPKT0_S37_T1_PT2_T3_T4_T5_iT6_T7_T8_T9_T10_T11_ ; -- Begin function _ZN2ck16tensor_operation6device12_GLOBAL__N_137kernel_grouped_conv_fwd_dl_multiple_dINS_32GridwiseGemmDlMultipleD_km_kn_mnILi256EDF16_fNS_5TupleIJDF16_EEEDF16_NS0_12element_wise11PassThroughES8_NS7_7AddReluELNS_25InMemoryDataOperationEnumE0ENS_16TensorDescriptorINS5_IJNS_5EmbedINS5_IJiiiEEESD_Lb0EEENS_11PassThroughIiEENS_3PadIiiiLb0EEESG_SG_NSC_INS5_IJiiEEESJ_Lb0EEESG_NS_23Merge_v2_magic_divisionISJ_EESM_NS_8RightPadIiiLb0EEESO_NS_7UnMergeISJ_Lb0EEESG_EEENS5_IJNS_8SequenceIJLi0EEEENSS_IJLi1EEEENSS_IJLi2EEEENSS_IJLi3EEEENSS_IJLi4EEEENSS_IJLi5EEEENSS_IJLi6EEEENSS_IJLi7ELi9EEEENSS_IJLi8ELi10EEEENSS_IJLi11EEEENSS_IJLi12EEEENSS_IJLi14EEEENSS_IJLi13EEEEEEENS5_IJNSS_IJLi1ELi2ELi3EEEESX_SY_SZ_NSS_IJLi7EEEENSS_IJLi8ELi9EEEENSS_IJLi10EEEES12_S13_S15_S14_NSS_IJLi15ELi16EEEENSS_IJLi17EEEEEEENSS_IJLi15ELi17ELi16EEEElEENSB_INS5_IJSQ_SO_SO_SQ_SG_EEENS5_IJST_SU_SV_SX_SW_EEENS5_IJNSS_IJLi1ELi2EEEESW_SX_NSS_IJLi5ELi6EEEES18_EEENSS_IJLi5ELi7ELi6EEEElEENSB_INS5_IJSK_SO_SO_EEENS5_IJST_SU_SV_EEENS5_IJS1I_SW_SX_EEENSS_IJLi3ELi4EEEElEELi128ELi128ELi16ELi2ELi4ELi4ELi1ENSS_IJLi8ELi2EEEES1S_NSS_IJLi8ELi1ELi1ELi2EEEENSS_IJLi2ELi1ELi128ELi1EEEENSS_IJLi1ELi2ELi0ELi3EEEES1V_NSS_IJLi4ELi1ELi1ELi2EEEES1V_NSS_IJLi1ELi1ELi1ELi2EEEES1T_S1U_S1V_S1V_S1W_S1V_S1X_NSS_IJLi0ELi1ELi2ELi3ELi4ELi5EEEELi5ELi4EEEDF16_NS5_IJPKDF16_EEEDF16_S8_S8_S9_NSB_INS5_IJSE_SG_SI_SG_SG_SK_SG_SM_SM_SO_SO_SQ_SG_SG_NSP_INS5_IJiNS_17integral_constantIiLi128EEEEEELb0EEENSF_INS23_IiLi2EEEEEEEENS5_IJST_SU_SV_SW_SX_SY_SZ_S10_S11_S12_S13_S14_S15_NSS_IJLi15EEEES1C_NSS_IJLi16EEEEEEENS5_IJS17_SX_SY_SZ_S18_S19_S1A_S12_S13_S15_S14_S1B_S1C_NSS_IJLi18EEEENSS_IJLi19ELi20EEEENSS_IJLi21EEEEEEENSS_IJLi18ELi19ELi20ELi21EEEElEENSB_INS5_IJSQ_SO_SO_SQ_SG_SG_S26_S28_EEENS5_IJST_SU_SV_SX_SW_SY_S18_SZ_EEENS5_IJS1I_SW_SX_S1J_S18_NSS_IJLi8EEEENSS_IJLi9ELi10EEEES12_EEENSS_IJLi8ELi9ELi10ELi11EEEElEENS5_IJNSB_INS5_IJSK_SO_SO_NSP_INS5_IJiS27_NS23_IiLi64EEEEEELb0EEES2S_EEENS5_IJST_SU_SV_SW_SX_EEENS5_IJS1I_SW_SX_NSS_IJLi5ELi6ELi7EEEENSS_IJLi8ELi9ELi10EEEEEEENSS_IJLi5ELi6ELi7ELi8ELi9ELi10EEEElEEEEES2Z_NS_31BlockToCTileMap_M00_N00_M01_N01ILi128ELi128ES1R_Lb0EEENS1_30ComputePtrOffsetOfStridedBatchILi1ELi1ELi1EvEELb0ELb1EEEvPKT0_S37_T1_PT2_T3_T4_T5_iT6_T7_T8_T9_T10_T11_
	.p2align	8
	.type	_ZN2ck16tensor_operation6device12_GLOBAL__N_137kernel_grouped_conv_fwd_dl_multiple_dINS_32GridwiseGemmDlMultipleD_km_kn_mnILi256EDF16_fNS_5TupleIJDF16_EEEDF16_NS0_12element_wise11PassThroughES8_NS7_7AddReluELNS_25InMemoryDataOperationEnumE0ENS_16TensorDescriptorINS5_IJNS_5EmbedINS5_IJiiiEEESD_Lb0EEENS_11PassThroughIiEENS_3PadIiiiLb0EEESG_SG_NSC_INS5_IJiiEEESJ_Lb0EEESG_NS_23Merge_v2_magic_divisionISJ_EESM_NS_8RightPadIiiLb0EEESO_NS_7UnMergeISJ_Lb0EEESG_EEENS5_IJNS_8SequenceIJLi0EEEENSS_IJLi1EEEENSS_IJLi2EEEENSS_IJLi3EEEENSS_IJLi4EEEENSS_IJLi5EEEENSS_IJLi6EEEENSS_IJLi7ELi9EEEENSS_IJLi8ELi10EEEENSS_IJLi11EEEENSS_IJLi12EEEENSS_IJLi14EEEENSS_IJLi13EEEEEEENS5_IJNSS_IJLi1ELi2ELi3EEEESX_SY_SZ_NSS_IJLi7EEEENSS_IJLi8ELi9EEEENSS_IJLi10EEEES12_S13_S15_S14_NSS_IJLi15ELi16EEEENSS_IJLi17EEEEEEENSS_IJLi15ELi17ELi16EEEElEENSB_INS5_IJSQ_SO_SO_SQ_SG_EEENS5_IJST_SU_SV_SX_SW_EEENS5_IJNSS_IJLi1ELi2EEEESW_SX_NSS_IJLi5ELi6EEEES18_EEENSS_IJLi5ELi7ELi6EEEElEENSB_INS5_IJSK_SO_SO_EEENS5_IJST_SU_SV_EEENS5_IJS1I_SW_SX_EEENSS_IJLi3ELi4EEEElEELi128ELi128ELi16ELi2ELi4ELi4ELi1ENSS_IJLi8ELi2EEEES1S_NSS_IJLi8ELi1ELi1ELi2EEEENSS_IJLi2ELi1ELi128ELi1EEEENSS_IJLi1ELi2ELi0ELi3EEEES1V_NSS_IJLi4ELi1ELi1ELi2EEEES1V_NSS_IJLi1ELi1ELi1ELi2EEEES1T_S1U_S1V_S1V_S1W_S1V_S1X_NSS_IJLi0ELi1ELi2ELi3ELi4ELi5EEEELi5ELi4EEEDF16_NS5_IJPKDF16_EEEDF16_S8_S8_S9_NSB_INS5_IJSE_SG_SI_SG_SG_SK_SG_SM_SM_SO_SO_SQ_SG_SG_NSP_INS5_IJiNS_17integral_constantIiLi128EEEEEELb0EEENSF_INS23_IiLi2EEEEEEEENS5_IJST_SU_SV_SW_SX_SY_SZ_S10_S11_S12_S13_S14_S15_NSS_IJLi15EEEES1C_NSS_IJLi16EEEEEEENS5_IJS17_SX_SY_SZ_S18_S19_S1A_S12_S13_S15_S14_S1B_S1C_NSS_IJLi18EEEENSS_IJLi19ELi20EEEENSS_IJLi21EEEEEEENSS_IJLi18ELi19ELi20ELi21EEEElEENSB_INS5_IJSQ_SO_SO_SQ_SG_SG_S26_S28_EEENS5_IJST_SU_SV_SX_SW_SY_S18_SZ_EEENS5_IJS1I_SW_SX_S1J_S18_NSS_IJLi8EEEENSS_IJLi9ELi10EEEES12_EEENSS_IJLi8ELi9ELi10ELi11EEEElEENS5_IJNSB_INS5_IJSK_SO_SO_NSP_INS5_IJiS27_NS23_IiLi64EEEEEELb0EEES2S_EEENS5_IJST_SU_SV_SW_SX_EEENS5_IJS1I_SW_SX_NSS_IJLi5ELi6ELi7EEEENSS_IJLi8ELi9ELi10EEEEEEENSS_IJLi5ELi6ELi7ELi8ELi9ELi10EEEElEEEEES2Z_NS_31BlockToCTileMap_M00_N00_M01_N01ILi128ELi128ES1R_Lb0EEENS1_30ComputePtrOffsetOfStridedBatchILi1ELi1ELi1EvEELb0ELb1EEEvPKT0_S37_T1_PT2_T3_T4_T5_iT6_T7_T8_T9_T10_T11_,@function
_ZN2ck16tensor_operation6device12_GLOBAL__N_137kernel_grouped_conv_fwd_dl_multiple_dINS_32GridwiseGemmDlMultipleD_km_kn_mnILi256EDF16_fNS_5TupleIJDF16_EEEDF16_NS0_12element_wise11PassThroughES8_NS7_7AddReluELNS_25InMemoryDataOperationEnumE0ENS_16TensorDescriptorINS5_IJNS_5EmbedINS5_IJiiiEEESD_Lb0EEENS_11PassThroughIiEENS_3PadIiiiLb0EEESG_SG_NSC_INS5_IJiiEEESJ_Lb0EEESG_NS_23Merge_v2_magic_divisionISJ_EESM_NS_8RightPadIiiLb0EEESO_NS_7UnMergeISJ_Lb0EEESG_EEENS5_IJNS_8SequenceIJLi0EEEENSS_IJLi1EEEENSS_IJLi2EEEENSS_IJLi3EEEENSS_IJLi4EEEENSS_IJLi5EEEENSS_IJLi6EEEENSS_IJLi7ELi9EEEENSS_IJLi8ELi10EEEENSS_IJLi11EEEENSS_IJLi12EEEENSS_IJLi14EEEENSS_IJLi13EEEEEEENS5_IJNSS_IJLi1ELi2ELi3EEEESX_SY_SZ_NSS_IJLi7EEEENSS_IJLi8ELi9EEEENSS_IJLi10EEEES12_S13_S15_S14_NSS_IJLi15ELi16EEEENSS_IJLi17EEEEEEENSS_IJLi15ELi17ELi16EEEElEENSB_INS5_IJSQ_SO_SO_SQ_SG_EEENS5_IJST_SU_SV_SX_SW_EEENS5_IJNSS_IJLi1ELi2EEEESW_SX_NSS_IJLi5ELi6EEEES18_EEENSS_IJLi5ELi7ELi6EEEElEENSB_INS5_IJSK_SO_SO_EEENS5_IJST_SU_SV_EEENS5_IJS1I_SW_SX_EEENSS_IJLi3ELi4EEEElEELi128ELi128ELi16ELi2ELi4ELi4ELi1ENSS_IJLi8ELi2EEEES1S_NSS_IJLi8ELi1ELi1ELi2EEEENSS_IJLi2ELi1ELi128ELi1EEEENSS_IJLi1ELi2ELi0ELi3EEEES1V_NSS_IJLi4ELi1ELi1ELi2EEEES1V_NSS_IJLi1ELi1ELi1ELi2EEEES1T_S1U_S1V_S1V_S1W_S1V_S1X_NSS_IJLi0ELi1ELi2ELi3ELi4ELi5EEEELi5ELi4EEEDF16_NS5_IJPKDF16_EEEDF16_S8_S8_S9_NSB_INS5_IJSE_SG_SI_SG_SG_SK_SG_SM_SM_SO_SO_SQ_SG_SG_NSP_INS5_IJiNS_17integral_constantIiLi128EEEEEELb0EEENSF_INS23_IiLi2EEEEEEEENS5_IJST_SU_SV_SW_SX_SY_SZ_S10_S11_S12_S13_S14_S15_NSS_IJLi15EEEES1C_NSS_IJLi16EEEEEEENS5_IJS17_SX_SY_SZ_S18_S19_S1A_S12_S13_S15_S14_S1B_S1C_NSS_IJLi18EEEENSS_IJLi19ELi20EEEENSS_IJLi21EEEEEEENSS_IJLi18ELi19ELi20ELi21EEEElEENSB_INS5_IJSQ_SO_SO_SQ_SG_SG_S26_S28_EEENS5_IJST_SU_SV_SX_SW_SY_S18_SZ_EEENS5_IJS1I_SW_SX_S1J_S18_NSS_IJLi8EEEENSS_IJLi9ELi10EEEES12_EEENSS_IJLi8ELi9ELi10ELi11EEEElEENS5_IJNSB_INS5_IJSK_SO_SO_NSP_INS5_IJiS27_NS23_IiLi64EEEEEELb0EEES2S_EEENS5_IJST_SU_SV_SW_SX_EEENS5_IJS1I_SW_SX_NSS_IJLi5ELi6ELi7EEEENSS_IJLi8ELi9ELi10EEEEEEENSS_IJLi5ELi6ELi7ELi8ELi9ELi10EEEElEEEEES2Z_NS_31BlockToCTileMap_M00_N00_M01_N01ILi128ELi128ES1R_Lb0EEENS1_30ComputePtrOffsetOfStridedBatchILi1ELi1ELi1EvEELb0ELb1EEEvPKT0_S37_T1_PT2_T3_T4_T5_iT6_T7_T8_T9_T10_T11_: ; @_ZN2ck16tensor_operation6device12_GLOBAL__N_137kernel_grouped_conv_fwd_dl_multiple_dINS_32GridwiseGemmDlMultipleD_km_kn_mnILi256EDF16_fNS_5TupleIJDF16_EEEDF16_NS0_12element_wise11PassThroughES8_NS7_7AddReluELNS_25InMemoryDataOperationEnumE0ENS_16TensorDescriptorINS5_IJNS_5EmbedINS5_IJiiiEEESD_Lb0EEENS_11PassThroughIiEENS_3PadIiiiLb0EEESG_SG_NSC_INS5_IJiiEEESJ_Lb0EEESG_NS_23Merge_v2_magic_divisionISJ_EESM_NS_8RightPadIiiLb0EEESO_NS_7UnMergeISJ_Lb0EEESG_EEENS5_IJNS_8SequenceIJLi0EEEENSS_IJLi1EEEENSS_IJLi2EEEENSS_IJLi3EEEENSS_IJLi4EEEENSS_IJLi5EEEENSS_IJLi6EEEENSS_IJLi7ELi9EEEENSS_IJLi8ELi10EEEENSS_IJLi11EEEENSS_IJLi12EEEENSS_IJLi14EEEENSS_IJLi13EEEEEEENS5_IJNSS_IJLi1ELi2ELi3EEEESX_SY_SZ_NSS_IJLi7EEEENSS_IJLi8ELi9EEEENSS_IJLi10EEEES12_S13_S15_S14_NSS_IJLi15ELi16EEEENSS_IJLi17EEEEEEENSS_IJLi15ELi17ELi16EEEElEENSB_INS5_IJSQ_SO_SO_SQ_SG_EEENS5_IJST_SU_SV_SX_SW_EEENS5_IJNSS_IJLi1ELi2EEEESW_SX_NSS_IJLi5ELi6EEEES18_EEENSS_IJLi5ELi7ELi6EEEElEENSB_INS5_IJSK_SO_SO_EEENS5_IJST_SU_SV_EEENS5_IJS1I_SW_SX_EEENSS_IJLi3ELi4EEEElEELi128ELi128ELi16ELi2ELi4ELi4ELi1ENSS_IJLi8ELi2EEEES1S_NSS_IJLi8ELi1ELi1ELi2EEEENSS_IJLi2ELi1ELi128ELi1EEEENSS_IJLi1ELi2ELi0ELi3EEEES1V_NSS_IJLi4ELi1ELi1ELi2EEEES1V_NSS_IJLi1ELi1ELi1ELi2EEEES1T_S1U_S1V_S1V_S1W_S1V_S1X_NSS_IJLi0ELi1ELi2ELi3ELi4ELi5EEEELi5ELi4EEEDF16_NS5_IJPKDF16_EEEDF16_S8_S8_S9_NSB_INS5_IJSE_SG_SI_SG_SG_SK_SG_SM_SM_SO_SO_SQ_SG_SG_NSP_INS5_IJiNS_17integral_constantIiLi128EEEEEELb0EEENSF_INS23_IiLi2EEEEEEEENS5_IJST_SU_SV_SW_SX_SY_SZ_S10_S11_S12_S13_S14_S15_NSS_IJLi15EEEES1C_NSS_IJLi16EEEEEEENS5_IJS17_SX_SY_SZ_S18_S19_S1A_S12_S13_S15_S14_S1B_S1C_NSS_IJLi18EEEENSS_IJLi19ELi20EEEENSS_IJLi21EEEEEEENSS_IJLi18ELi19ELi20ELi21EEEElEENSB_INS5_IJSQ_SO_SO_SQ_SG_SG_S26_S28_EEENS5_IJST_SU_SV_SX_SW_SY_S18_SZ_EEENS5_IJS1I_SW_SX_S1J_S18_NSS_IJLi8EEEENSS_IJLi9ELi10EEEES12_EEENSS_IJLi8ELi9ELi10ELi11EEEElEENS5_IJNSB_INS5_IJSK_SO_SO_NSP_INS5_IJiS27_NS23_IiLi64EEEEEELb0EEES2S_EEENS5_IJST_SU_SV_SW_SX_EEENS5_IJS1I_SW_SX_NSS_IJLi5ELi6ELi7EEEENSS_IJLi8ELi9ELi10EEEEEEENSS_IJLi5ELi6ELi7ELi8ELi9ELi10EEEElEEEEES2Z_NS_31BlockToCTileMap_M00_N00_M01_N01ILi128ELi128ES1R_Lb0EEENS1_30ComputePtrOffsetOfStridedBatchILi1ELi1ELi1EvEELb0ELb1EEEvPKT0_S37_T1_PT2_T3_T4_T5_iT6_T7_T8_T9_T10_T11_
; %bb.0:
	s_load_dword s0, s[4:5], 0x24
	s_load_dwordx8 s[16:23], s[4:5], 0x0
	s_load_dwordx8 s[8:15], s[4:5], 0x34
	s_load_dword s44, s[4:5], 0x48
	s_load_dwordx2 s[34:35], s[4:5], 0x60
	s_load_dword s54, s[4:5], 0x70
	s_waitcnt lgkmcnt(0)
	s_load_dword s13, s[4:5], 0x78
	s_load_dword s55, s[4:5], 0x80
	;; [unrolled: 1-line block ×12, first 2 shown]
	s_abs_i32 s1, s0
	v_cvt_f32_u32_e32 v1, s1
	s_sub_i32 s3, 0, s1
	s_waitcnt lgkmcnt(0)
	s_xor_b32 s0, s2, s0
	s_abs_i32 s2, s2
	v_rcp_iflag_f32_e32 v1, v1
	s_ashr_i32 s0, s0, 31
	v_lshrrev_b32_e32 v21, 1, v0
	v_mul_f32_e32 v1, 0x4f7ffffe, v1
	v_cvt_u32_f32_e32 v1, v1
	v_readfirstlane_b32 s11, v1
	s_mul_i32 s3, s3, s11
	s_mul_hi_u32 s3, s11, s3
	s_add_i32 s11, s11, s3
	s_mul_hi_u32 s3, s2, s11
	s_mul_i32 s11, s3, s1
	s_sub_i32 s2, s2, s11
	s_add_i32 s11, s3, 1
	s_sub_i32 s15, s2, s1
	s_cmp_ge_u32 s2, s1
	s_cselect_b32 s3, s11, s3
	s_cselect_b32 s2, s15, s2
	s_add_i32 s11, s3, 1
	s_cmp_ge_u32 s2, s1
	s_cselect_b32 s1, s11, s3
	s_xor_b32 s1, s1, s0
	s_sub_i32 s11, s1, s0
	s_abs_i32 s15, s11
	v_cvt_f32_u32_e32 v1, s15
	s_sub_i32 s53, 0, s15
	s_abs_i32 s52, s6
	s_xor_b32 s11, s6, s11
	v_rcp_iflag_f32_e32 v1, v1
	s_ashr_i32 s11, s11, 31
	s_load_dword s56, s[4:5], 0x204
	s_load_dword s57, s[4:5], 0x214
	s_load_dwordx4 s[0:3], s[4:5], 0x220
	s_load_dwordx4 s[36:39], s[4:5], 0x234
	;; [unrolled: 1-line block ×3, first 2 shown]
	s_load_dwordx8 s[24:31], s[4:5], 0x260
	v_mul_f32_e32 v1, 0x4f7ffffe, v1
	v_cvt_u32_f32_e32 v1, v1
	v_readfirstlane_b32 s58, v1
	s_mul_i32 s53, s53, s58
	s_mul_hi_u32 s53, s58, s53
	s_add_i32 s58, s58, s53
	s_mul_hi_u32 s53, s52, s58
	s_mul_i32 s58, s53, s15
	s_sub_i32 s52, s52, s58
	s_add_i32 s58, s53, 1
	s_sub_i32 s59, s52, s15
	s_cmp_ge_u32 s52, s15
	s_cselect_b32 s53, s58, s53
	s_cselect_b32 s52, s59, s52
	s_add_i32 s58, s53, 1
	s_cmp_ge_u32 s52, s15
	s_cselect_b32 s15, s58, s53
	s_xor_b32 s15, s15, s11
	s_sub_i32 s11, s15, s11
	s_ashr_i32 s15, s11, 31
	s_waitcnt lgkmcnt(0)
	s_mul_i32 s52, s24, s15
	s_mul_hi_u32 s53, s24, s11
	s_add_i32 s52, s53, s52
	s_mul_i32 s25, s25, s11
	s_add_i32 s53, s52, s25
	s_mul_i32 s52, s24, s11
	s_mul_i32 s24, s26, s15
	s_mul_hi_u32 s25, s26, s11
	s_add_i32 s24, s25, s24
	s_mul_i32 s25, s27, s11
	s_add_i32 s27, s24, s25
	s_mul_i32 s24, s30, s15
	s_mul_hi_u32 s25, s30, s11
	s_add_i32 s24, s25, s24
	s_mul_i32 s25, s31, s11
	s_add_i32 s31, s24, s25
	;; [unrolled: 5-line block ×3, first 2 shown]
	s_mul_i32 s24, s28, s11
	s_lshl_b64 s[24:25], s[24:25], 1
	s_add_u32 s24, s20, s24
	s_addc_u32 s25, s21, s25
	s_lshl_b64 s[20:21], s[52:53], 1
	s_mul_i32 s26, s26, s11
	s_add_u32 s20, s16, s20
	s_addc_u32 s21, s17, s21
	s_lshl_b64 s[16:17], s[26:27], 1
	s_mul_i32 s30, s30, s11
	s_add_u32 s28, s18, s16
	s_addc_u32 s29, s19, s17
	s_lshl_b64 s[16:17], s[30:31], 1
	s_add_u32 s16, s22, s16
	s_mul_hi_u32 s15, s39, s6
	s_addc_u32 s11, s23, s17
	s_add_i32 s15, s6, s15
	s_lshr_b32 s27, s15, s43
	s_mul_hi_u32 s15, s27, s38
	s_add_i32 s15, s27, s15
	s_lshr_b32 s30, s15, s42
	s_mul_hi_u32 s15, s30, s37
	;; [unrolled: 3-line block ×3, first 2 shown]
	s_add_i32 s15, s31, s15
	s_lshr_b32 s15, s15, s40
	s_mul_i32 s15, s15, s0
	s_mul_i32 s2, s30, s2
	s_sub_i32 s0, s31, s15
	v_lshlrev_b32_e32 v1, 3, v0
	s_sub_i32 s2, s27, s2
	s_mul_i32 s0, s0, s56
	v_and_b32_e32 v19, 8, v1
	s_add_i32 s2, s2, s0
	v_mul_lo_u32 v20, s49, v19
	s_lshl_b32 s17, s2, 7
	v_or_b32_e32 v22, s17, v21
	v_mul_hi_u32 v2, v22, s13
	v_mul_hi_u32 v1, v20, s48
	s_and_b32 s21, s21, 0xffff
	s_load_dword s2, s[4:5], 0x148
	s_load_dwordx2 s[18:19], s[4:5], 0x158
	s_load_dword s13, s[4:5], 0x164
	s_load_dword s15, s[4:5], 0x170
	;; [unrolled: 1-line block ×3, first 2 shown]
	v_add_u32_e32 v2, v22, v2
	v_add_u32_e32 v1, v20, v1
	v_lshrrev_b32_e32 v2, s55, v2
	v_mul_lo_u32 v3, v2, s54
	v_lshrrev_b32_e32 v5, s47, v1
	v_mul_lo_u32 v1, v5, s34
	v_mul_lo_u32 v4, v5, s46
	v_sub_u32_e32 v3, v22, v3
	s_mul_i32 s31, s31, s1
	v_mad_u64_u32 v[17:18], s[22:23], v3, s35, v[1:2]
	v_mul_lo_u32 v2, v2, s8
	s_lshl_b32 s8, s49, 2
	v_sub_u32_e32 v6, v20, v4
	v_subrev_u32_e32 v1, s44, v17
	v_add_u32_e32 v23, s8, v20
	v_mul_lo_u32 v1, v1, s9
	v_mul_lo_u32 v3, v6, s10
	v_mul_hi_u32 v8, v23, s48
	s_lshl_b32 s22, s51, 1
	s_mov_b32 s23, 0x20000
	v_add3_u32 v7, v2, v3, v1
	v_add_u32_e32 v8, v23, v8
	v_lshlrev_b32_e32 v1, 1, v7
	v_lshrrev_b32_e32 v24, s47, v8
	buffer_load_dwordx4 v[1:4], v1, s[20:23], 0 offen
	v_mul_lo_u32 v8, v24, s46
	v_sub_u32_e32 v5, v24, v5
	v_mul_lo_u32 v25, v5, s34
	s_mul_i32 s27, s27, s3
	v_sub_u32_e32 v26, v23, v8
	v_sub_u32_e32 v5, v26, v6
	v_mul_lo_u32 v6, v25, s9
	v_mul_lo_u32 v5, v5, s10
	s_sub_i32 s1, s30, s31
	s_sub_i32 s0, s6, s27
	s_mul_i32 s1, s1, s57
	v_add3_u32 v28, v5, v6, v7
	v_lshlrev_b32_e32 v5, 1, v28
	buffer_load_dwordx4 v[5:8], v5, s[20:23], 0 offen
	v_mul_lo_u32 v18, s45, v19
	s_add_i32 s0, s0, s1
	s_lshl_b32 s27, s0, 7
	v_or_b32_e32 v27, s27, v21
	v_mad_u64_u32 v[13:14], s[0:1], v27, s7, v[18:19]
	s_waitcnt lgkmcnt(0)
	s_lshl_b32 s30, s2, 1
	s_and_b32 s29, s29, 0xffff
	s_mov_b32 s31, s23
	v_lshlrev_b32_e32 v9, 1, v13
	s_lshl_b32 s35, s45, 2
	buffer_load_dwordx4 v[9:12], v9, s[28:31], 0 offen
	v_add_u32_e32 v29, s35, v13
	v_lshlrev_b32_e32 v13, 1, v29
	buffer_load_dwordx4 v[13:16], v13, s[28:31], 0 offen
	s_load_dword s36, s[4:5], 0xb4
	s_load_dword s2, s[4:5], 0xa8
	s_sub_i32 s37, s12, s14
	v_cmp_gt_i32_e64 s[6:7], s37, v17
	v_add_u32_e32 v25, v17, v25
	s_waitcnt lgkmcnt(0)
	v_cmp_gt_i32_e64 s[0:1], s36, v20
	v_cmp_gt_i32_e32 vcc, s2, v22
	v_cmp_le_i32_e64 s[2:3], s44, v17
	s_and_b64 s[0:1], s[6:7], s[0:1]
	s_and_b64 s[0:1], s[0:1], s[2:3]
	s_and_b64 s[0:1], vcc, s[0:1]
	v_cmp_gt_i32_e64 s[6:7], s37, v25
	v_cmp_le_i32_e64 s[2:3], s44, v25
	s_mul_i32 s45, s45, 12
	s_lshl_b32 s26, s26, 1
	s_and_b32 s25, s25, 0xffff
	s_waitcnt vmcnt(3)
	v_cndmask_b32_e64 v20, 0, v4, s[0:1]
	v_or_b32_e32 v4, 16, v19
	v_mul_lo_u32 v30, s49, v4
	v_lshlrev_b32_e32 v4, 2, v21
	v_cndmask_b32_e64 v2, 0, v2, s[0:1]
	v_cndmask_b32_e64 v1, 0, v1, s[0:1]
	v_lshl_or_b32 v4, v19, 9, v4
	ds_write2st64_b32 v4, v1, v2 offset1:2
	v_mul_hi_u32 v1, v30, s48
	v_cndmask_b32_e64 v3, 0, v3, s[0:1]
	v_cmp_gt_i32_e64 s[0:1], s36, v23
	s_and_b64 s[0:1], s[6:7], s[0:1]
	v_add_u32_e32 v1, v30, v1
	s_and_b64 s[0:1], s[0:1], s[2:3]
	v_lshrrev_b32_e32 v2, s47, v1
	s_and_b64 s[0:1], vcc, s[0:1]
	v_mul_lo_u32 v1, v2, s46
	s_waitcnt vmcnt(2)
	v_cndmask_b32_e64 v8, 0, v8, s[0:1]
	v_cndmask_b32_e64 v7, 0, v7, s[0:1]
	;; [unrolled: 1-line block ×4, first 2 shown]
	ds_write2st64_b32 v4, v3, v20 offset0:4 offset1:6
	ds_write2st64_b32 v4, v5, v6 offset0:8 offset1:10
	;; [unrolled: 1-line block ×3, first 2 shown]
	v_sub_u32_e32 v3, v2, v24
	v_mul_lo_u32 v3, v3, s34
	v_sub_u32_e32 v1, v30, v1
	v_sub_u32_e32 v5, v1, v26
	v_mul_lo_u32 v5, v5, s10
	v_mul_lo_u32 v6, v3, s9
	v_add_u32_e32 v24, s8, v30
	v_cmp_gt_i32_e64 s[2:3], s33, v18
	v_cmp_gt_i32_e64 s[0:1], s50, v27
	v_add3_u32 v5, v5, v6, v28
	v_mul_hi_u32 v6, v24, s48
	s_and_b64 s[2:3], s[2:3], s[0:1]
	v_add_u32_e32 v27, s35, v18
	s_waitcnt vmcnt(1)
	v_cndmask_b32_e64 v12, 0, v12, s[2:3]
	v_add_u32_e32 v6, v24, v6
	v_lshrrev_b32_e32 v6, s47, v6
	v_sub_u32_e32 v2, v6, v2
	v_mul_lo_u32 v26, v2, s34
	v_cndmask_b32_e64 v11, 0, v11, s[2:3]
	v_cndmask_b32_e64 v10, 0, v10, s[2:3]
	;; [unrolled: 1-line block ×3, first 2 shown]
	v_cmp_gt_i32_e64 s[2:3], s33, v27
	s_and_b64 s[2:3], s[2:3], s[0:1]
	s_waitcnt vmcnt(0)
	v_cndmask_b32_e64 v16, 0, v16, s[2:3]
	v_cndmask_b32_e64 v15, 0, v15, s[2:3]
	;; [unrolled: 1-line block ×4, first 2 shown]
	v_mad_u64_u32 v[1:2], s[2:3], v6, s46, v[1:2]
	v_mul_lo_u32 v2, v26, s9
	v_lshlrev_b32_e32 v7, 1, v5
	v_sub_u32_e32 v1, v24, v1
	ds_write2st64_b32 v4, v9, v10 offset0:64 offset1:66
	v_mad_u64_u32 v[1:2], s[2:3], v1, s10, v[2:3]
	ds_write2st64_b32 v4, v11, v12 offset0:68 offset1:70
	ds_write2st64_b32 v4, v13, v14 offset0:72 offset1:74
	;; [unrolled: 1-line block ×3, first 2 shown]
	s_waitcnt lgkmcnt(0)
	s_barrier
	buffer_load_dwordx4 v[8:11], v7, s[20:23], 0 offen
	v_add_lshl_u32 v1, v1, v5, 1
	buffer_load_dwordx4 v[12:15], v1, s[20:23], 0 offen
	v_add_u32_e32 v1, s45, v29
	v_lshlrev_b32_e32 v2, 1, v1
	buffer_load_dwordx4 v[16:19], v2, s[28:31], 0 offen
	v_add_lshl_u32 v1, v1, s35, 1
	buffer_load_dwordx4 v[20:23], v1, s[28:31], 0 offen
	v_lshrrev_b32_e32 v1, 5, v0
	v_lshlrev_b32_e32 v5, 1, v0
	v_lshlrev_b32_e32 v2, 6, v1
	v_and_b32_e32 v6, 0x1f8, v5
	v_sub_u32_e32 v2, v6, v2
	v_lshlrev_b32_e32 v0, 2, v0
	v_and_or_b32 v0, v0, 4, v2
	v_add_u32_e32 v2, v25, v3
	v_cmp_gt_i32_e64 s[2:3], s36, v30
	v_cmp_gt_i32_e64 s[6:7], s37, v2
	s_load_dwordx2 s[8:9], s[4:5], 0x1a8
	s_load_dword s10, s[4:5], 0x1b4
	s_load_dword s12, s[4:5], 0x1c0
	;; [unrolled: 1-line block ×3, first 2 shown]
	v_cmp_le_i32_e64 s[4:5], s44, v2
	s_and_b64 s[2:3], s[6:7], s[2:3]
	s_and_b64 s[2:3], s[2:3], s[4:5]
	v_lshlrev_b32_e32 v1, 3, v1
	s_and_b64 s[2:3], vcc, s[2:3]
	v_add_u32_e32 v2, v2, v26
	v_and_or_b32 v1, v5, 4, v1
	v_cmp_gt_i32_e64 s[6:7], s37, v2
	v_cmp_le_i32_e64 s[4:5], s44, v2
	v_add_u32_e32 v3, s45, v27
	v_add_u32_e32 v2, s35, v3
	s_waitcnt vmcnt(3)
	v_cndmask_b32_e64 v5, 0, v11, s[2:3]
	v_cndmask_b32_e64 v6, 0, v10, s[2:3]
	;; [unrolled: 1-line block ×4, first 2 shown]
	v_cmp_gt_i32_e64 s[2:3], s36, v24
	s_and_b64 s[2:3], s[6:7], s[2:3]
	s_and_b64 s[2:3], s[2:3], s[4:5]
	s_and_b64 vcc, vcc, s[2:3]
	s_waitcnt vmcnt(2)
	v_cndmask_b32_e32 v9, 0, v15, vcc
	v_cndmask_b32_e32 v10, 0, v14, vcc
	;; [unrolled: 1-line block ×4, first 2 shown]
	v_cmp_gt_i32_e32 vcc, s33, v3
	s_and_b64 vcc, vcc, s[0:1]
	s_waitcnt vmcnt(1)
	v_cndmask_b32_e32 v13, 0, v19, vcc
	v_cndmask_b32_e32 v14, 0, v18, vcc
	;; [unrolled: 1-line block ×4, first 2 shown]
	v_cmp_gt_i32_e32 vcc, s33, v2
	s_and_b64 vcc, vcc, s[0:1]
	v_lshlrev_b32_e32 v2, 2, v1
	v_lshlrev_b32_e32 v3, 2, v0
	s_waitcnt vmcnt(0)
	v_cndmask_b32_e32 v17, 0, v23, vcc
	v_cndmask_b32_e32 v18, 0, v22, vcc
	ds_read_b128 v[22:25], v2
	ds_read_b128 v[26:29], v3 offset:16384
	ds_read_b128 v[30:33], v3 offset:16640
	;; [unrolled: 1-line block ×3, first 2 shown]
	v_cndmask_b32_e32 v19, 0, v21, vcc
	v_cndmask_b32_e32 v20, 0, v20, vcc
	s_lshl_b32 s6, s19, 6
	s_waitcnt lgkmcnt(0)
	v_dot2_f32_f16 v38, v22, v26, 0
	v_dot2_f32_f16 v39, v22, v27, 0
	;; [unrolled: 1-line block ×32, first 2 shown]
	ds_read_b128 v[21:24], v2 offset:512
	v_dot2_f32_f16 v70, v34, v26, 0
	v_dot2_f32_f16 v71, v34, v27, 0
	;; [unrolled: 1-line block ×16, first 2 shown]
	ds_read_b128 v[25:28], v3 offset:16896
	v_dot2_f32_f16 v86, v34, v30, 0
	v_dot2_f32_f16 v87, v34, v31, 0
	;; [unrolled: 1-line block ×16, first 2 shown]
	ds_read_b128 v[29:32], v3 offset:17152
	ds_read_b128 v[33:36], v2 offset:768
	s_waitcnt lgkmcnt(2)
	v_dot2_f32_f16 v38, v21, v25, v38
	v_dot2_f32_f16 v39, v21, v26, v39
	;; [unrolled: 1-line block ×16, first 2 shown]
	s_waitcnt lgkmcnt(1)
	v_dot2_f32_f16 v54, v21, v29, v54
	v_dot2_f32_f16 v55, v21, v30, v55
	;; [unrolled: 1-line block ×16, first 2 shown]
	ds_read_b128 v[21:24], v2 offset:1024
	s_waitcnt lgkmcnt(1)
	v_dot2_f32_f16 v70, v33, v25, v70
	v_dot2_f32_f16 v71, v33, v26, v71
	;; [unrolled: 1-line block ×16, first 2 shown]
	ds_read_b128 v[25:28], v3 offset:17408
	v_dot2_f32_f16 v86, v33, v29, v86
	v_dot2_f32_f16 v87, v33, v30, v87
	;; [unrolled: 1-line block ×16, first 2 shown]
	ds_read_b128 v[29:32], v3 offset:17664
	ds_read_b128 v[33:36], v2 offset:1280
	s_waitcnt lgkmcnt(2)
	v_dot2_f32_f16 v38, v21, v25, v38
	v_dot2_f32_f16 v39, v21, v26, v39
	;; [unrolled: 1-line block ×16, first 2 shown]
	s_waitcnt lgkmcnt(1)
	v_dot2_f32_f16 v54, v21, v29, v54
	v_dot2_f32_f16 v55, v21, v30, v55
	;; [unrolled: 1-line block ×16, first 2 shown]
	ds_read_b128 v[21:24], v2 offset:1536
	s_waitcnt lgkmcnt(1)
	v_dot2_f32_f16 v70, v33, v25, v70
	v_dot2_f32_f16 v71, v33, v26, v71
	v_dot2_f32_f16 v72, v33, v27, v72
	v_dot2_f32_f16 v73, v33, v28, v73
	v_dot2_f32_f16 v74, v34, v25, v74
	v_dot2_f32_f16 v75, v34, v26, v75
	v_dot2_f32_f16 v76, v34, v27, v76
	v_dot2_f32_f16 v77, v34, v28, v77
	v_dot2_f32_f16 v78, v35, v25, v78
	v_dot2_f32_f16 v79, v35, v26, v79
	v_dot2_f32_f16 v80, v35, v27, v80
	v_dot2_f32_f16 v81, v35, v28, v81
	v_dot2_f32_f16 v82, v36, v25, v82
	v_dot2_f32_f16 v83, v36, v26, v83
	v_dot2_f32_f16 v84, v36, v27, v84
	v_dot2_f32_f16 v85, v36, v28, v85
	ds_read_b128 v[25:28], v3 offset:17920
	v_dot2_f32_f16 v86, v33, v29, v86
	v_dot2_f32_f16 v87, v33, v30, v87
	;; [unrolled: 1-line block ×16, first 2 shown]
	ds_read_b128 v[29:32], v3 offset:18176
	ds_read_b128 v[33:36], v2 offset:1792
	s_waitcnt lgkmcnt(2)
	v_dot2_f32_f16 v38, v21, v25, v38
	v_dot2_f32_f16 v39, v21, v26, v39
	;; [unrolled: 1-line block ×16, first 2 shown]
	s_waitcnt lgkmcnt(1)
	v_dot2_f32_f16 v54, v21, v29, v54
	v_dot2_f32_f16 v55, v21, v30, v55
	;; [unrolled: 1-line block ×16, first 2 shown]
	ds_read_b128 v[21:24], v2 offset:2048
	s_waitcnt lgkmcnt(1)
	v_dot2_f32_f16 v70, v33, v25, v70
	v_dot2_f32_f16 v71, v33, v26, v71
	;; [unrolled: 1-line block ×16, first 2 shown]
	ds_read_b128 v[25:28], v3 offset:18432
	v_dot2_f32_f16 v86, v33, v29, v86
	v_dot2_f32_f16 v87, v33, v30, v87
	;; [unrolled: 1-line block ×16, first 2 shown]
	ds_read_b128 v[29:32], v3 offset:18688
	ds_read_b128 v[33:36], v2 offset:2304
	s_waitcnt lgkmcnt(2)
	v_dot2_f32_f16 v38, v21, v25, v38
	v_dot2_f32_f16 v39, v21, v26, v39
	v_dot2_f32_f16 v40, v21, v27, v40
	v_dot2_f32_f16 v41, v21, v28, v41
	v_dot2_f32_f16 v42, v22, v25, v42
	v_dot2_f32_f16 v43, v22, v26, v43
	v_dot2_f32_f16 v44, v22, v27, v44
	v_dot2_f32_f16 v45, v22, v28, v45
	v_dot2_f32_f16 v46, v23, v25, v46
	v_dot2_f32_f16 v47, v23, v26, v47
	v_dot2_f32_f16 v48, v23, v27, v48
	v_dot2_f32_f16 v49, v23, v28, v49
	v_dot2_f32_f16 v50, v24, v25, v50
	v_dot2_f32_f16 v51, v24, v26, v51
	v_dot2_f32_f16 v52, v24, v27, v52
	v_dot2_f32_f16 v53, v24, v28, v53
	s_waitcnt lgkmcnt(1)
	v_dot2_f32_f16 v54, v21, v29, v54
	v_dot2_f32_f16 v55, v21, v30, v55
	;; [unrolled: 1-line block ×16, first 2 shown]
	ds_read_b128 v[21:24], v2 offset:2560
	s_waitcnt lgkmcnt(1)
	v_dot2_f32_f16 v70, v33, v25, v70
	v_dot2_f32_f16 v71, v33, v26, v71
	;; [unrolled: 1-line block ×16, first 2 shown]
	ds_read_b128 v[25:28], v3 offset:18944
	v_dot2_f32_f16 v86, v33, v29, v86
	v_dot2_f32_f16 v87, v33, v30, v87
	;; [unrolled: 1-line block ×16, first 2 shown]
	ds_read_b128 v[29:32], v3 offset:19200
	ds_read_b128 v[33:36], v2 offset:2816
	s_waitcnt lgkmcnt(2)
	v_dot2_f32_f16 v38, v21, v25, v38
	v_dot2_f32_f16 v39, v21, v26, v39
	;; [unrolled: 1-line block ×16, first 2 shown]
	s_waitcnt lgkmcnt(1)
	v_dot2_f32_f16 v54, v21, v29, v54
	v_dot2_f32_f16 v55, v21, v30, v55
	;; [unrolled: 1-line block ×16, first 2 shown]
	ds_read_b128 v[21:24], v2 offset:3072
	s_waitcnt lgkmcnt(1)
	v_dot2_f32_f16 v70, v33, v25, v70
	v_dot2_f32_f16 v71, v33, v26, v71
	;; [unrolled: 1-line block ×16, first 2 shown]
	ds_read_b128 v[25:28], v3 offset:19456
	v_dot2_f32_f16 v86, v33, v29, v86
	v_dot2_f32_f16 v87, v33, v30, v87
	;; [unrolled: 1-line block ×16, first 2 shown]
	ds_read_b128 v[29:32], v3 offset:19712
	ds_read_b128 v[33:36], v2 offset:3328
	s_waitcnt lgkmcnt(2)
	v_dot2_f32_f16 v38, v21, v25, v38
	v_dot2_f32_f16 v39, v21, v26, v39
	;; [unrolled: 1-line block ×16, first 2 shown]
	s_waitcnt lgkmcnt(1)
	v_dot2_f32_f16 v54, v21, v29, v54
	v_dot2_f32_f16 v55, v21, v30, v55
	;; [unrolled: 1-line block ×16, first 2 shown]
	ds_read_b128 v[21:24], v2 offset:3584
	s_waitcnt lgkmcnt(1)
	v_dot2_f32_f16 v70, v33, v25, v70
	v_dot2_f32_f16 v71, v33, v26, v71
	;; [unrolled: 1-line block ×16, first 2 shown]
	ds_read_b128 v[25:28], v3 offset:19968
	v_dot2_f32_f16 v86, v33, v29, v86
	v_dot2_f32_f16 v87, v33, v30, v87
	;; [unrolled: 1-line block ×16, first 2 shown]
	ds_read_b128 v[29:32], v3 offset:20224
	ds_read_b128 v[33:36], v2 offset:3840
	s_waitcnt lgkmcnt(2)
	v_dot2_f32_f16 v38, v21, v25, v38
	v_dot2_f32_f16 v39, v21, v26, v39
	;; [unrolled: 1-line block ×16, first 2 shown]
	s_waitcnt lgkmcnt(1)
	v_dot2_f32_f16 v54, v21, v29, v54
	v_dot2_f32_f16 v55, v21, v30, v55
	;; [unrolled: 1-line block ×16, first 2 shown]
	ds_read_b128 v[21:24], v2 offset:4096
	s_waitcnt lgkmcnt(1)
	v_dot2_f32_f16 v70, v33, v25, v70
	v_dot2_f32_f16 v71, v33, v26, v71
	;; [unrolled: 1-line block ×16, first 2 shown]
	ds_read_b128 v[25:28], v3 offset:20480
	v_dot2_f32_f16 v86, v33, v29, v86
	v_dot2_f32_f16 v87, v33, v30, v87
	;; [unrolled: 1-line block ×16, first 2 shown]
	ds_read_b128 v[29:32], v3 offset:20736
	ds_read_b128 v[33:36], v2 offset:4352
	s_waitcnt lgkmcnt(2)
	v_dot2_f32_f16 v38, v21, v25, v38
	v_dot2_f32_f16 v39, v21, v26, v39
	;; [unrolled: 1-line block ×16, first 2 shown]
	s_waitcnt lgkmcnt(1)
	v_dot2_f32_f16 v54, v21, v29, v54
	v_dot2_f32_f16 v55, v21, v30, v55
	v_dot2_f32_f16 v56, v21, v31, v56
	v_dot2_f32_f16 v57, v21, v32, v57
	v_dot2_f32_f16 v58, v22, v29, v58
	v_dot2_f32_f16 v59, v22, v30, v59
	v_dot2_f32_f16 v60, v22, v31, v60
	v_dot2_f32_f16 v61, v22, v32, v61
	v_dot2_f32_f16 v62, v23, v29, v62
	v_dot2_f32_f16 v63, v23, v30, v63
	v_dot2_f32_f16 v64, v23, v31, v64
	v_dot2_f32_f16 v65, v23, v32, v65
	v_dot2_f32_f16 v66, v24, v29, v66
	v_dot2_f32_f16 v67, v24, v30, v67
	v_dot2_f32_f16 v68, v24, v31, v68
	v_dot2_f32_f16 v69, v24, v32, v69
	ds_read_b128 v[21:24], v2 offset:4608
	s_waitcnt lgkmcnt(1)
	v_dot2_f32_f16 v70, v33, v25, v70
	v_dot2_f32_f16 v71, v33, v26, v71
	;; [unrolled: 1-line block ×16, first 2 shown]
	ds_read_b128 v[25:28], v3 offset:20992
	v_dot2_f32_f16 v86, v33, v29, v86
	v_dot2_f32_f16 v87, v33, v30, v87
	;; [unrolled: 1-line block ×16, first 2 shown]
	ds_read_b128 v[29:32], v3 offset:21248
	ds_read_b128 v[33:36], v2 offset:4864
	s_waitcnt lgkmcnt(2)
	v_dot2_f32_f16 v38, v21, v25, v38
	v_dot2_f32_f16 v39, v21, v26, v39
	;; [unrolled: 1-line block ×16, first 2 shown]
	s_waitcnt lgkmcnt(1)
	v_dot2_f32_f16 v54, v21, v29, v54
	v_dot2_f32_f16 v55, v21, v30, v55
	v_dot2_f32_f16 v56, v21, v31, v56
	v_dot2_f32_f16 v57, v21, v32, v57
	v_dot2_f32_f16 v58, v22, v29, v58
	v_dot2_f32_f16 v59, v22, v30, v59
	v_dot2_f32_f16 v60, v22, v31, v60
	v_dot2_f32_f16 v61, v22, v32, v61
	v_dot2_f32_f16 v62, v23, v29, v62
	v_dot2_f32_f16 v63, v23, v30, v63
	v_dot2_f32_f16 v64, v23, v31, v64
	v_dot2_f32_f16 v65, v23, v32, v65
	v_dot2_f32_f16 v66, v24, v29, v66
	v_dot2_f32_f16 v67, v24, v30, v67
	v_dot2_f32_f16 v68, v24, v31, v68
	v_dot2_f32_f16 v69, v24, v32, v69
	ds_read_b128 v[21:24], v2 offset:5120
	s_waitcnt lgkmcnt(1)
	v_dot2_f32_f16 v70, v33, v25, v70
	v_dot2_f32_f16 v71, v33, v26, v71
	v_dot2_f32_f16 v72, v33, v27, v72
	v_dot2_f32_f16 v73, v33, v28, v73
	v_dot2_f32_f16 v74, v34, v25, v74
	v_dot2_f32_f16 v75, v34, v26, v75
	v_dot2_f32_f16 v76, v34, v27, v76
	v_dot2_f32_f16 v77, v34, v28, v77
	v_dot2_f32_f16 v78, v35, v25, v78
	v_dot2_f32_f16 v79, v35, v26, v79
	v_dot2_f32_f16 v80, v35, v27, v80
	v_dot2_f32_f16 v81, v35, v28, v81
	v_dot2_f32_f16 v82, v36, v25, v82
	v_dot2_f32_f16 v83, v36, v26, v83
	v_dot2_f32_f16 v84, v36, v27, v84
	v_dot2_f32_f16 v85, v36, v28, v85
	ds_read_b128 v[25:28], v3 offset:21504
	v_dot2_f32_f16 v86, v33, v29, v86
	v_dot2_f32_f16 v87, v33, v30, v87
	;; [unrolled: 1-line block ×16, first 2 shown]
	ds_read_b128 v[29:32], v3 offset:21760
	ds_read_b128 v[33:36], v2 offset:5376
	s_waitcnt lgkmcnt(2)
	v_dot2_f32_f16 v38, v21, v25, v38
	v_dot2_f32_f16 v39, v21, v26, v39
	;; [unrolled: 1-line block ×16, first 2 shown]
	s_waitcnt lgkmcnt(1)
	v_dot2_f32_f16 v54, v21, v29, v54
	v_dot2_f32_f16 v55, v21, v30, v55
	;; [unrolled: 1-line block ×16, first 2 shown]
	ds_read_b128 v[21:24], v2 offset:5632
	s_waitcnt lgkmcnt(1)
	v_dot2_f32_f16 v70, v33, v25, v70
	v_dot2_f32_f16 v71, v33, v26, v71
	;; [unrolled: 1-line block ×16, first 2 shown]
	ds_read_b128 v[25:28], v3 offset:22016
	v_dot2_f32_f16 v86, v33, v29, v86
	v_dot2_f32_f16 v87, v33, v30, v87
	;; [unrolled: 1-line block ×16, first 2 shown]
	ds_read_b128 v[29:32], v3 offset:22272
	ds_read_b128 v[33:36], v2 offset:5888
	s_waitcnt lgkmcnt(2)
	v_dot2_f32_f16 v38, v21, v25, v38
	v_dot2_f32_f16 v39, v21, v26, v39
	v_dot2_f32_f16 v40, v21, v27, v40
	v_dot2_f32_f16 v41, v21, v28, v41
	v_dot2_f32_f16 v42, v22, v25, v42
	v_dot2_f32_f16 v43, v22, v26, v43
	v_dot2_f32_f16 v44, v22, v27, v44
	v_dot2_f32_f16 v45, v22, v28, v45
	v_dot2_f32_f16 v46, v23, v25, v46
	v_dot2_f32_f16 v47, v23, v26, v47
	v_dot2_f32_f16 v48, v23, v27, v48
	v_dot2_f32_f16 v49, v23, v28, v49
	v_dot2_f32_f16 v50, v24, v25, v50
	v_dot2_f32_f16 v51, v24, v26, v51
	v_dot2_f32_f16 v52, v24, v27, v52
	v_dot2_f32_f16 v53, v24, v28, v53
	s_waitcnt lgkmcnt(1)
	v_dot2_f32_f16 v54, v21, v29, v54
	v_dot2_f32_f16 v55, v21, v30, v55
	;; [unrolled: 1-line block ×16, first 2 shown]
	ds_read_b128 v[21:24], v2 offset:6144
	s_waitcnt lgkmcnt(1)
	v_dot2_f32_f16 v70, v33, v25, v70
	v_dot2_f32_f16 v71, v33, v26, v71
	;; [unrolled: 1-line block ×16, first 2 shown]
	ds_read_b128 v[25:28], v3 offset:22528
	v_dot2_f32_f16 v86, v33, v29, v86
	v_dot2_f32_f16 v87, v33, v30, v87
	;; [unrolled: 1-line block ×16, first 2 shown]
	ds_read_b128 v[29:32], v3 offset:22784
	ds_read_b128 v[33:36], v2 offset:6400
	s_waitcnt lgkmcnt(2)
	v_dot2_f32_f16 v38, v21, v25, v38
	v_dot2_f32_f16 v39, v21, v26, v39
	;; [unrolled: 1-line block ×16, first 2 shown]
	s_waitcnt lgkmcnt(1)
	v_dot2_f32_f16 v54, v21, v29, v54
	v_dot2_f32_f16 v55, v21, v30, v55
	;; [unrolled: 1-line block ×16, first 2 shown]
	ds_read_b128 v[21:24], v2 offset:6656
	s_waitcnt lgkmcnt(1)
	v_dot2_f32_f16 v70, v33, v25, v70
	v_dot2_f32_f16 v71, v33, v26, v71
	v_dot2_f32_f16 v72, v33, v27, v72
	v_dot2_f32_f16 v73, v33, v28, v73
	v_dot2_f32_f16 v74, v34, v25, v74
	v_dot2_f32_f16 v75, v34, v26, v75
	v_dot2_f32_f16 v76, v34, v27, v76
	v_dot2_f32_f16 v77, v34, v28, v77
	v_dot2_f32_f16 v78, v35, v25, v78
	v_dot2_f32_f16 v79, v35, v26, v79
	v_dot2_f32_f16 v80, v35, v27, v80
	v_dot2_f32_f16 v81, v35, v28, v81
	v_dot2_f32_f16 v82, v36, v25, v82
	v_dot2_f32_f16 v83, v36, v26, v83
	v_dot2_f32_f16 v84, v36, v27, v84
	v_dot2_f32_f16 v85, v36, v28, v85
	ds_read_b128 v[25:28], v3 offset:23040
	v_dot2_f32_f16 v86, v33, v29, v86
	v_dot2_f32_f16 v87, v33, v30, v87
	;; [unrolled: 1-line block ×16, first 2 shown]
	ds_read_b128 v[29:32], v3 offset:23296
	ds_read_b128 v[33:36], v2 offset:6912
	s_waitcnt lgkmcnt(2)
	v_dot2_f32_f16 v38, v21, v25, v38
	v_dot2_f32_f16 v39, v21, v26, v39
	;; [unrolled: 1-line block ×16, first 2 shown]
	s_waitcnt lgkmcnt(1)
	v_dot2_f32_f16 v54, v21, v29, v54
	v_dot2_f32_f16 v55, v21, v30, v55
	;; [unrolled: 1-line block ×16, first 2 shown]
	ds_read_b128 v[21:24], v2 offset:7168
	s_waitcnt lgkmcnt(1)
	v_dot2_f32_f16 v70, v33, v25, v70
	v_dot2_f32_f16 v71, v33, v26, v71
	;; [unrolled: 1-line block ×16, first 2 shown]
	ds_read_b128 v[25:28], v3 offset:23552
	v_dot2_f32_f16 v86, v33, v29, v86
	v_dot2_f32_f16 v87, v33, v30, v87
	;; [unrolled: 1-line block ×16, first 2 shown]
	ds_read_b128 v[29:32], v3 offset:23808
	ds_read_b128 v[33:36], v2 offset:7424
	s_waitcnt lgkmcnt(2)
	v_dot2_f32_f16 v38, v21, v25, v38
	v_dot2_f32_f16 v39, v21, v26, v39
	v_dot2_f32_f16 v40, v21, v27, v40
	v_dot2_f32_f16 v41, v21, v28, v41
	v_dot2_f32_f16 v42, v22, v25, v42
	v_dot2_f32_f16 v43, v22, v26, v43
	v_dot2_f32_f16 v44, v22, v27, v44
	v_dot2_f32_f16 v45, v22, v28, v45
	v_dot2_f32_f16 v46, v23, v25, v46
	v_dot2_f32_f16 v47, v23, v26, v47
	v_dot2_f32_f16 v48, v23, v27, v48
	v_dot2_f32_f16 v49, v23, v28, v49
	v_dot2_f32_f16 v50, v24, v25, v50
	v_dot2_f32_f16 v51, v24, v26, v51
	v_dot2_f32_f16 v52, v24, v27, v52
	v_dot2_f32_f16 v53, v24, v28, v53
	s_waitcnt lgkmcnt(1)
	v_dot2_f32_f16 v54, v21, v29, v54
	v_dot2_f32_f16 v55, v21, v30, v55
	;; [unrolled: 1-line block ×16, first 2 shown]
	ds_read_b128 v[21:24], v2 offset:7680
	s_waitcnt lgkmcnt(1)
	v_dot2_f32_f16 v70, v33, v25, v70
	v_dot2_f32_f16 v71, v33, v26, v71
	;; [unrolled: 1-line block ×16, first 2 shown]
	ds_read_b128 v[25:28], v3 offset:24064
	v_dot2_f32_f16 v86, v33, v29, v86
	v_dot2_f32_f16 v87, v33, v30, v87
	;; [unrolled: 1-line block ×16, first 2 shown]
	ds_read_b128 v[29:32], v3 offset:24320
	ds_read_b128 v[33:36], v2 offset:7936
	ds_write2st64_b32 v4, v8, v7 offset0:32 offset1:34
	ds_write2st64_b32 v4, v6, v5 offset0:36 offset1:38
	;; [unrolled: 1-line block ×8, first 2 shown]
	s_waitcnt lgkmcnt(0)
	s_barrier
	ds_read_b128 v[4:7], v2 offset:8192
	ds_read_b128 v[8:11], v3 offset:24576
	;; [unrolled: 1-line block ×4, first 2 shown]
	v_dot2_f32_f16 v38, v21, v25, v38
	v_dot2_f32_f16 v39, v21, v26, v39
	;; [unrolled: 1-line block ×64, first 2 shown]
	s_waitcnt lgkmcnt(2)
	v_dot2_f32_f16 v32, v4, v8, v38
	v_dot2_f32_f16 v36, v4, v9, v39
	;; [unrolled: 1-line block ×16, first 2 shown]
	s_waitcnt lgkmcnt(1)
	v_dot2_f32_f16 v51, v4, v12, v54
	v_dot2_f32_f16 v52, v4, v13, v55
	;; [unrolled: 1-line block ×16, first 2 shown]
	ds_read_b128 v[4:7], v2 offset:8704
	s_waitcnt lgkmcnt(1)
	v_dot2_f32_f16 v63, v16, v8, v66
	v_dot2_f32_f16 v64, v16, v9, v67
	;; [unrolled: 1-line block ×16, first 2 shown]
	ds_read_b128 v[8:11], v3 offset:25088
	v_dot2_f32_f16 v75, v16, v12, v78
	v_dot2_f32_f16 v76, v16, v13, v79
	;; [unrolled: 1-line block ×16, first 2 shown]
	ds_read_b128 v[12:15], v3 offset:25344
	ds_read_b128 v[16:19], v2 offset:8960
	s_waitcnt lgkmcnt(2)
	v_dot2_f32_f16 v32, v4, v8, v32
	v_dot2_f32_f16 v36, v4, v9, v36
	;; [unrolled: 1-line block ×16, first 2 shown]
	s_waitcnt lgkmcnt(1)
	v_dot2_f32_f16 v51, v4, v12, v51
	v_dot2_f32_f16 v52, v4, v13, v52
	;; [unrolled: 1-line block ×16, first 2 shown]
	ds_read_b128 v[4:7], v2 offset:9216
	s_waitcnt lgkmcnt(1)
	v_dot2_f32_f16 v63, v16, v8, v63
	v_dot2_f32_f16 v64, v16, v9, v64
	;; [unrolled: 1-line block ×16, first 2 shown]
	ds_read_b128 v[8:11], v3 offset:25600
	v_dot2_f32_f16 v75, v16, v12, v75
	v_dot2_f32_f16 v76, v16, v13, v76
	;; [unrolled: 1-line block ×16, first 2 shown]
	ds_read_b128 v[12:15], v3 offset:25856
	ds_read_b128 v[16:19], v2 offset:9472
	s_waitcnt lgkmcnt(2)
	v_dot2_f32_f16 v32, v4, v8, v32
	v_dot2_f32_f16 v36, v4, v9, v36
	;; [unrolled: 1-line block ×16, first 2 shown]
	s_waitcnt lgkmcnt(1)
	v_dot2_f32_f16 v51, v4, v12, v51
	v_dot2_f32_f16 v52, v4, v13, v52
	;; [unrolled: 1-line block ×16, first 2 shown]
	ds_read_b128 v[4:7], v2 offset:9728
	s_waitcnt lgkmcnt(1)
	v_dot2_f32_f16 v63, v16, v8, v63
	v_dot2_f32_f16 v64, v16, v9, v64
	;; [unrolled: 1-line block ×16, first 2 shown]
	ds_read_b128 v[8:11], v3 offset:26112
	v_dot2_f32_f16 v75, v16, v12, v75
	v_dot2_f32_f16 v76, v16, v13, v76
	;; [unrolled: 1-line block ×16, first 2 shown]
	ds_read_b128 v[12:15], v3 offset:26368
	ds_read_b128 v[16:19], v2 offset:9984
	s_waitcnt lgkmcnt(2)
	v_dot2_f32_f16 v32, v4, v8, v32
	v_dot2_f32_f16 v36, v4, v9, v36
	;; [unrolled: 1-line block ×16, first 2 shown]
	s_waitcnt lgkmcnt(1)
	v_dot2_f32_f16 v51, v4, v12, v51
	v_dot2_f32_f16 v52, v4, v13, v52
	;; [unrolled: 1-line block ×16, first 2 shown]
	ds_read_b128 v[4:7], v2 offset:10240
	s_waitcnt lgkmcnt(1)
	v_dot2_f32_f16 v63, v16, v8, v63
	v_dot2_f32_f16 v64, v16, v9, v64
	v_dot2_f32_f16 v65, v16, v10, v65
	v_dot2_f32_f16 v66, v16, v11, v66
	v_dot2_f32_f16 v67, v17, v8, v67
	v_dot2_f32_f16 v68, v17, v9, v68
	v_dot2_f32_f16 v69, v17, v10, v69
	v_dot2_f32_f16 v70, v17, v11, v70
	v_dot2_f32_f16 v71, v18, v8, v71
	v_dot2_f32_f16 v72, v18, v9, v72
	v_dot2_f32_f16 v73, v18, v10, v73
	v_dot2_f32_f16 v74, v18, v11, v74
	v_dot2_f32_f16 v25, v19, v8, v25
	v_dot2_f32_f16 v26, v19, v9, v26
	v_dot2_f32_f16 v27, v19, v10, v27
	v_dot2_f32_f16 v28, v19, v11, v28
	ds_read_b128 v[8:11], v3 offset:26624
	v_dot2_f32_f16 v75, v16, v12, v75
	v_dot2_f32_f16 v76, v16, v13, v76
	;; [unrolled: 1-line block ×16, first 2 shown]
	ds_read_b128 v[12:15], v3 offset:26880
	ds_read_b128 v[16:19], v2 offset:10496
	s_waitcnt lgkmcnt(2)
	v_dot2_f32_f16 v32, v4, v8, v32
	v_dot2_f32_f16 v36, v4, v9, v36
	;; [unrolled: 1-line block ×16, first 2 shown]
	s_waitcnt lgkmcnt(1)
	v_dot2_f32_f16 v51, v4, v12, v51
	v_dot2_f32_f16 v52, v4, v13, v52
	;; [unrolled: 1-line block ×16, first 2 shown]
	ds_read_b128 v[4:7], v2 offset:10752
	s_waitcnt lgkmcnt(1)
	v_dot2_f32_f16 v63, v16, v8, v63
	v_dot2_f32_f16 v64, v16, v9, v64
	;; [unrolled: 1-line block ×16, first 2 shown]
	ds_read_b128 v[8:11], v3 offset:27136
	v_dot2_f32_f16 v75, v16, v12, v75
	v_dot2_f32_f16 v76, v16, v13, v76
	;; [unrolled: 1-line block ×16, first 2 shown]
	ds_read_b128 v[12:15], v3 offset:27392
	ds_read_b128 v[16:19], v2 offset:11008
	s_waitcnt lgkmcnt(2)
	v_dot2_f32_f16 v32, v4, v8, v32
	v_dot2_f32_f16 v36, v4, v9, v36
	;; [unrolled: 1-line block ×16, first 2 shown]
	s_waitcnt lgkmcnt(1)
	v_dot2_f32_f16 v51, v4, v12, v51
	v_dot2_f32_f16 v52, v4, v13, v52
	;; [unrolled: 1-line block ×16, first 2 shown]
	ds_read_b128 v[4:7], v2 offset:11264
	s_waitcnt lgkmcnt(1)
	v_dot2_f32_f16 v63, v16, v8, v63
	v_dot2_f32_f16 v64, v16, v9, v64
	v_dot2_f32_f16 v65, v16, v10, v65
	v_dot2_f32_f16 v66, v16, v11, v66
	v_dot2_f32_f16 v67, v17, v8, v67
	v_dot2_f32_f16 v68, v17, v9, v68
	v_dot2_f32_f16 v69, v17, v10, v69
	v_dot2_f32_f16 v70, v17, v11, v70
	v_dot2_f32_f16 v71, v18, v8, v71
	v_dot2_f32_f16 v72, v18, v9, v72
	v_dot2_f32_f16 v73, v18, v10, v73
	v_dot2_f32_f16 v74, v18, v11, v74
	v_dot2_f32_f16 v25, v19, v8, v25
	v_dot2_f32_f16 v26, v19, v9, v26
	v_dot2_f32_f16 v27, v19, v10, v27
	v_dot2_f32_f16 v28, v19, v11, v28
	ds_read_b128 v[8:11], v3 offset:27648
	v_dot2_f32_f16 v75, v16, v12, v75
	v_dot2_f32_f16 v76, v16, v13, v76
	;; [unrolled: 1-line block ×16, first 2 shown]
	ds_read_b128 v[12:15], v3 offset:27904
	ds_read_b128 v[16:19], v2 offset:11520
	s_waitcnt lgkmcnt(2)
	v_dot2_f32_f16 v32, v4, v8, v32
	v_dot2_f32_f16 v36, v4, v9, v36
	;; [unrolled: 1-line block ×16, first 2 shown]
	s_waitcnt lgkmcnt(1)
	v_dot2_f32_f16 v51, v4, v12, v51
	v_dot2_f32_f16 v52, v4, v13, v52
	v_dot2_f32_f16 v53, v4, v14, v53
	v_dot2_f32_f16 v21, v4, v15, v21
	v_dot2_f32_f16 v54, v5, v12, v54
	v_dot2_f32_f16 v55, v5, v13, v55
	v_dot2_f32_f16 v56, v5, v14, v56
	v_dot2_f32_f16 v22, v5, v15, v22
	v_dot2_f32_f16 v57, v6, v12, v57
	v_dot2_f32_f16 v58, v6, v13, v58
	v_dot2_f32_f16 v59, v6, v14, v59
	v_dot2_f32_f16 v23, v6, v15, v23
	v_dot2_f32_f16 v60, v7, v12, v60
	v_dot2_f32_f16 v61, v7, v13, v61
	v_dot2_f32_f16 v62, v7, v14, v62
	v_dot2_f32_f16 v24, v7, v15, v24
	ds_read_b128 v[4:7], v2 offset:11776
	s_waitcnt lgkmcnt(1)
	v_dot2_f32_f16 v63, v16, v8, v63
	v_dot2_f32_f16 v64, v16, v9, v64
	;; [unrolled: 1-line block ×16, first 2 shown]
	ds_read_b128 v[8:11], v3 offset:28160
	v_dot2_f32_f16 v75, v16, v12, v75
	v_dot2_f32_f16 v76, v16, v13, v76
	;; [unrolled: 1-line block ×16, first 2 shown]
	ds_read_b128 v[12:15], v3 offset:28416
	ds_read_b128 v[16:19], v2 offset:12032
	s_waitcnt lgkmcnt(2)
	v_dot2_f32_f16 v32, v4, v8, v32
	v_dot2_f32_f16 v36, v4, v9, v36
	;; [unrolled: 1-line block ×16, first 2 shown]
	s_waitcnt lgkmcnt(1)
	v_dot2_f32_f16 v51, v4, v12, v51
	v_dot2_f32_f16 v52, v4, v13, v52
	;; [unrolled: 1-line block ×16, first 2 shown]
	ds_read_b128 v[4:7], v2 offset:12288
	s_waitcnt lgkmcnt(1)
	v_dot2_f32_f16 v63, v16, v8, v63
	v_dot2_f32_f16 v64, v16, v9, v64
	;; [unrolled: 1-line block ×16, first 2 shown]
	ds_read_b128 v[8:11], v3 offset:28672
	v_dot2_f32_f16 v75, v16, v12, v75
	v_dot2_f32_f16 v76, v16, v13, v76
	;; [unrolled: 1-line block ×16, first 2 shown]
	ds_read_b128 v[12:15], v3 offset:28928
	ds_read_b128 v[16:19], v2 offset:12544
	s_waitcnt lgkmcnt(2)
	v_dot2_f32_f16 v32, v4, v8, v32
	v_dot2_f32_f16 v36, v4, v9, v36
	;; [unrolled: 1-line block ×16, first 2 shown]
	s_waitcnt lgkmcnt(1)
	v_dot2_f32_f16 v51, v4, v12, v51
	v_dot2_f32_f16 v52, v4, v13, v52
	v_dot2_f32_f16 v53, v4, v14, v53
	v_dot2_f32_f16 v21, v4, v15, v21
	v_dot2_f32_f16 v54, v5, v12, v54
	v_dot2_f32_f16 v55, v5, v13, v55
	v_dot2_f32_f16 v56, v5, v14, v56
	v_dot2_f32_f16 v22, v5, v15, v22
	v_dot2_f32_f16 v57, v6, v12, v57
	v_dot2_f32_f16 v58, v6, v13, v58
	v_dot2_f32_f16 v59, v6, v14, v59
	v_dot2_f32_f16 v23, v6, v15, v23
	v_dot2_f32_f16 v60, v7, v12, v60
	v_dot2_f32_f16 v61, v7, v13, v61
	v_dot2_f32_f16 v62, v7, v14, v62
	v_dot2_f32_f16 v24, v7, v15, v24
	ds_read_b128 v[4:7], v2 offset:12800
	s_waitcnt lgkmcnt(1)
	v_dot2_f32_f16 v63, v16, v8, v63
	v_dot2_f32_f16 v64, v16, v9, v64
	;; [unrolled: 1-line block ×16, first 2 shown]
	ds_read_b128 v[8:11], v3 offset:29184
	v_dot2_f32_f16 v75, v16, v12, v75
	v_dot2_f32_f16 v76, v16, v13, v76
	;; [unrolled: 1-line block ×16, first 2 shown]
	ds_read_b128 v[12:15], v3 offset:29440
	ds_read_b128 v[16:19], v2 offset:13056
	s_waitcnt lgkmcnt(2)
	v_dot2_f32_f16 v32, v4, v8, v32
	v_dot2_f32_f16 v36, v4, v9, v36
	;; [unrolled: 1-line block ×16, first 2 shown]
	s_waitcnt lgkmcnt(1)
	v_dot2_f32_f16 v51, v4, v12, v51
	v_dot2_f32_f16 v52, v4, v13, v52
	;; [unrolled: 1-line block ×16, first 2 shown]
	ds_read_b128 v[4:7], v2 offset:13312
	s_waitcnt lgkmcnt(1)
	v_dot2_f32_f16 v63, v16, v8, v63
	v_dot2_f32_f16 v64, v16, v9, v64
	;; [unrolled: 1-line block ×16, first 2 shown]
	ds_read_b128 v[8:11], v3 offset:29696
	v_dot2_f32_f16 v75, v16, v12, v75
	v_dot2_f32_f16 v76, v16, v13, v76
	;; [unrolled: 1-line block ×16, first 2 shown]
	ds_read_b128 v[12:15], v3 offset:29952
	ds_read_b128 v[16:19], v2 offset:13568
	s_waitcnt lgkmcnt(2)
	v_dot2_f32_f16 v32, v4, v8, v32
	v_dot2_f32_f16 v36, v4, v9, v36
	;; [unrolled: 1-line block ×16, first 2 shown]
	s_waitcnt lgkmcnt(1)
	v_dot2_f32_f16 v51, v4, v12, v51
	v_dot2_f32_f16 v52, v4, v13, v52
	;; [unrolled: 1-line block ×16, first 2 shown]
	ds_read_b128 v[4:7], v2 offset:13824
	s_waitcnt lgkmcnt(1)
	v_dot2_f32_f16 v63, v16, v8, v63
	v_dot2_f32_f16 v64, v16, v9, v64
	;; [unrolled: 1-line block ×16, first 2 shown]
	ds_read_b128 v[8:11], v3 offset:30208
	v_dot2_f32_f16 v75, v16, v12, v75
	v_dot2_f32_f16 v76, v16, v13, v76
	;; [unrolled: 1-line block ×16, first 2 shown]
	ds_read_b128 v[12:15], v3 offset:30464
	ds_read_b128 v[16:19], v2 offset:14080
	s_waitcnt lgkmcnt(2)
	v_dot2_f32_f16 v32, v4, v8, v32
	v_dot2_f32_f16 v36, v4, v9, v36
	;; [unrolled: 1-line block ×16, first 2 shown]
	s_waitcnt lgkmcnt(1)
	v_dot2_f32_f16 v51, v4, v12, v51
	v_dot2_f32_f16 v52, v4, v13, v52
	;; [unrolled: 1-line block ×16, first 2 shown]
	ds_read_b128 v[4:7], v2 offset:14336
	s_waitcnt lgkmcnt(1)
	v_dot2_f32_f16 v63, v16, v8, v63
	v_dot2_f32_f16 v64, v16, v9, v64
	;; [unrolled: 1-line block ×16, first 2 shown]
	ds_read_b128 v[8:11], v3 offset:30720
	v_dot2_f32_f16 v75, v16, v12, v75
	v_dot2_f32_f16 v76, v16, v13, v76
	;; [unrolled: 1-line block ×16, first 2 shown]
	ds_read_b128 v[12:15], v3 offset:30976
	ds_read_b128 v[16:19], v2 offset:14592
	s_waitcnt lgkmcnt(2)
	v_dot2_f32_f16 v32, v4, v8, v32
	v_dot2_f32_f16 v36, v4, v9, v36
	;; [unrolled: 1-line block ×16, first 2 shown]
	s_waitcnt lgkmcnt(1)
	v_dot2_f32_f16 v51, v4, v12, v51
	v_dot2_f32_f16 v52, v4, v13, v52
	;; [unrolled: 1-line block ×16, first 2 shown]
	ds_read_b128 v[4:7], v2 offset:14848
	s_waitcnt lgkmcnt(1)
	v_dot2_f32_f16 v63, v16, v8, v63
	v_dot2_f32_f16 v64, v16, v9, v64
	;; [unrolled: 1-line block ×16, first 2 shown]
	ds_read_b128 v[8:11], v3 offset:31232
	v_dot2_f32_f16 v75, v16, v12, v75
	v_dot2_f32_f16 v76, v16, v13, v76
	;; [unrolled: 1-line block ×16, first 2 shown]
	ds_read_b128 v[12:15], v3 offset:31488
	ds_read_b128 v[16:19], v2 offset:15104
	s_waitcnt lgkmcnt(2)
	v_dot2_f32_f16 v32, v4, v8, v32
	v_dot2_f32_f16 v36, v4, v9, v36
	;; [unrolled: 1-line block ×16, first 2 shown]
	s_waitcnt lgkmcnt(1)
	v_dot2_f32_f16 v51, v4, v12, v51
	v_dot2_f32_f16 v52, v4, v13, v52
	;; [unrolled: 1-line block ×16, first 2 shown]
	ds_read_b128 v[4:7], v2 offset:15360
	s_waitcnt lgkmcnt(1)
	v_dot2_f32_f16 v63, v16, v8, v63
	v_dot2_f32_f16 v64, v16, v9, v64
	v_dot2_f32_f16 v65, v16, v10, v65
	v_dot2_f32_f16 v66, v16, v11, v66
	v_dot2_f32_f16 v67, v17, v8, v67
	v_dot2_f32_f16 v68, v17, v9, v68
	v_dot2_f32_f16 v69, v17, v10, v69
	v_dot2_f32_f16 v70, v17, v11, v70
	v_dot2_f32_f16 v71, v18, v8, v71
	v_dot2_f32_f16 v72, v18, v9, v72
	v_dot2_f32_f16 v73, v18, v10, v73
	v_dot2_f32_f16 v74, v18, v11, v74
	v_dot2_f32_f16 v25, v19, v8, v25
	v_dot2_f32_f16 v26, v19, v9, v26
	v_dot2_f32_f16 v27, v19, v10, v27
	v_dot2_f32_f16 v28, v19, v11, v28
	ds_read_b128 v[8:11], v3 offset:31744
	v_dot2_f32_f16 v75, v16, v12, v75
	v_dot2_f32_f16 v76, v16, v13, v76
	;; [unrolled: 1-line block ×16, first 2 shown]
	ds_read_b128 v[12:15], v3 offset:32000
	ds_read_b128 v[16:19], v2 offset:15616
	s_waitcnt lgkmcnt(2)
	v_dot2_f32_f16 v32, v4, v8, v32
	v_dot2_f32_f16 v36, v4, v9, v36
	;; [unrolled: 1-line block ×4, first 2 shown]
	s_waitcnt lgkmcnt(0)
	v_dot2_f32_f16 v118, v19, v15, v31
	v_or_b32_e32 v31, s17, v1
	v_mul_lo_u32 v1, v31, s18
	v_dot2_f32_f16 v111, v17, v15, v34
	v_add_u32_e32 v34, s27, v0
	s_mov_b32 s27, s23
	v_mad_u64_u32 v[0:1], s[0:1], v34, s19, v[1:2]
	v_dot2_f32_f16 v39, v5, v8, v39
	v_dot2_f32_f16 v84, v5, v9, v40
	v_lshlrev_b32_e32 v1, 1, v0
	v_dot2_f32_f16 v85, v5, v10, v41
	v_dot2_f32_f16 v42, v5, v11, v42
	;; [unrolled: 1-line block ×26, first 2 shown]
	ds_read_b128 v[4:7], v2 offset:15872
	ds_read_b128 v[44:47], v3 offset:32256
	v_dot2_f32_f16 v100, v16, v8, v63
	v_dot2_f32_f16 v101, v16, v9, v64
	;; [unrolled: 1-line block ×3, first 2 shown]
	ds_read_b128 v[52:55], v3 offset:32512
	ds_read_b128 v[61:64], v2 offset:16128
	buffer_load_dwordx2 v[20:21], v1, s[24:27], 0 offen
	v_add_u32_e32 v2, s18, v0
	v_dot2_f32_f16 v109, v16, v15, v33
	s_waitcnt lgkmcnt(1)
	v_dot2_f32_f16 v33, v5, v55, v22
	v_dot2_f32_f16 v22, v6, v54, v59
	v_add_u32_e32 v59, s18, v2
	v_dot2_f32_f16 v75, v16, v12, v75
	v_dot2_f32_f16 v110, v17, v12, v78
	;; [unrolled: 1-line block ×4, first 2 shown]
	v_add_lshl_u32 v12, v59, s6, 1
	v_dot2_f32_f16 v122, v5, v45, v84
	v_dot2_f32_f16 v24, v5, v46, v85
	buffer_load_dwordx2 v[84:85], v12, s[24:27], 0 offen
	v_add_lshl_u32 v1, v0, s6, 1
	buffer_load_dwordx2 v[48:49], v1, s[24:27], 0 offen
	v_lshlrev_b32_e32 v0, 1, v2
	v_dot2_f32_f16 v102, v17, v11, v70
	v_dot2_f32_f16 v103, v18, v8, v71
	buffer_load_dwordx2 v[70:71], v0, s[24:27], 0 offen
	v_add_lshl_u32 v0, v2, s6, 1
	v_dot2_f32_f16 v108, v16, v14, v77
	buffer_load_dwordx2 v[77:78], v0, s[24:27], 0 offen
	v_lshlrev_b32_e32 v2, 1, v59
	v_dot2_f32_f16 v112, v18, v13, v82
	v_dot2_f32_f16 v113, v18, v14, v83
	buffer_load_dwordx2 v[82:83], v2, s[24:27], 0 offen
	v_dot2_f32_f16 v68, v17, v9, v68
	v_dot2_f32_f16 v72, v18, v9, v72
	;; [unrolled: 1-line block ×14, first 2 shown]
	s_waitcnt lgkmcnt(0)
	v_dot2_f32_f16 v30, v61, v45, v101
	v_dot2_f32_f16 v43, v62, v45, v68
	;; [unrolled: 1-line block ×4, first 2 shown]
	v_add_u32_e32 v45, s18, v59
	v_dot2_f32_f16 v104, v19, v8, v25
	v_dot2_f32_f16 v106, v19, v10, v27
	v_dot2_f32_f16 v119, v4, v44, v32
	v_dot2_f32_f16 v41, v4, v47, v38
	v_dot2_f32_f16 v121, v5, v44, v39
	v_dot2_f32_f16 v25, v5, v47, v42
	v_dot2_f32_f16 v19, v6, v47, v88
	v_dot2_f32_f16 v11, v7, v47, v50
	v_dot2_f32_f16 v39, v4, v55, v94
	v_dot2_f32_f16 v94, v5, v52, v95
	v_dot2_f32_f16 v96, v5, v53, v96
	v_dot2_f32_f16 v32, v5, v54, v56
	v_dot2_f32_f16 v1, v61, v47, v66
	v_dot2_f32_f16 v5, v62, v47, v102
	v_dot2_f32_f16 v9, v63, v47, v74
	v_dot2_f32_f16 v15, v64, v47, v107
	v_lshlrev_b32_e32 v47, 1, v45
	v_dot2_f32_f16 v73, v18, v10, v73
	v_dot2_f32_f16 v18, v6, v46, v87
	buffer_load_dwordx2 v[86:87], v47, s[24:27], 0 offen
	v_dot2_f32_f16 v67, v17, v8, v67
	v_dot2_f32_f16 v76, v16, v13, v76
	v_dot2_f32_f16 v79, v17, v13, v79
	v_dot2_f32_f16 v65, v16, v10, v65
	v_dot2_f32_f16 v69, v17, v10, v69
	v_dot2_f32_f16 v40, v4, v46, v37
	v_dot2_f32_f16 v27, v7, v44, v89
	v_dot2_f32_f16 v10, v7, v46, v91
	v_dot2_f32_f16 v91, v4, v53, v92
	v_dot2_f32_f16 v124, v6, v53, v58
	v_dot2_f32_f16 v28, v7, v53, v97
	v_dot2_f32_f16 v29, v61, v44, v100
	v_dot2_f32_f16 v42, v62, v44, v67
	v_dot2_f32_f16 v50, v63, v44, v103
	v_dot2_f32_f16 v56, v64, v44, v104
	v_dot2_f32_f16 v37, v61, v53, v76
	v_dot2_f32_f16 v44, v62, v53, v79
	v_dot2_f32_f16 v66, v63, v53, v112
	v_dot2_f32_f16 v68, v64, v53, v116
	v_add_lshl_u32 v53, v45, s6, 1
	buffer_load_dwordx2 v[88:89], v53, s[24:27], 0 offen
	v_cmp_gt_i32_e32 vcc, s15, v34
	v_cmp_gt_i32_e64 s[2:3], s13, v31
	s_and_b64 s[0:1], s[2:3], vcc
	v_dot2_f32_f16 v8, v63, v46, v73
	s_waitcnt vmcnt(7)
	v_cndmask_b32_e64 v73, 0, v21, s[0:1]
	v_cndmask_b32_e64 v21, 0, v20, s[0:1]
	v_cvt_f32_f16_e32 v47, v21
	v_dot2_f32_f16 v80, v17, v14, v80
	v_dot2_f32_f16 v38, v4, v54, v93
	;; [unrolled: 1-line block ×11, first 2 shown]
	v_cvt_f32_f16_sdwa v52, v21 dst_sel:DWORD dst_unused:UNUSED_PAD src0_sel:WORD_1
	v_add_f32_e32 v47, v119, v47
	v_max_f32_e32 v75, 0, v47
	v_dot2_f32_f16 v12, v63, v54, v113
	v_add_f32_e32 v47, v120, v52
	v_add_u32_e32 v52, 64, v34
	v_cmp_gt_i32_e64 s[0:1], s15, v52
	s_and_b64 s[2:3], s[2:3], s[0:1]
	v_dot2_f32_f16 v13, v63, v55, v114
	s_waitcnt vmcnt(5)
	v_cndmask_b32_e64 v63, 0, v49, s[2:3]
	v_cndmask_b32_e64 v49, 0, v48, s[2:3]
	v_cvt_f32_f16_e32 v53, v49
	v_dot2_f32_f16 v23, v6, v55, v23
	v_dot2_f32_f16 v6, v62, v54, v80
	v_max_f32_e32 v80, 0, v47
	v_mad_u64_u32 v[47:48], s[2:3], s18, 61, v[45:46]
	v_add_f32_e32 v45, v90, v53
	v_cvt_f32_f16_sdwa v53, v49 dst_sel:DWORD dst_unused:UNUSED_PAD src0_sel:WORD_1
	v_max_f32_e32 v74, 0, v45
	v_lshlrev_b32_e32 v45, 1, v47
	buffer_load_dwordx2 v[48:49], v45, s[24:27], 0 offen
	v_or_b32_e32 v59, 1, v31
	v_cmp_gt_i32_e64 s[2:3], s13, v59
	s_and_b64 s[4:5], s[2:3], vcc
	v_add_f32_e32 v45, v91, v53
	s_waitcnt vmcnt(5)
	v_cndmask_b32_e64 v53, 0, v70, s[4:5]
	v_dot2_f32_f16 v17, v7, v55, v99
	v_dot2_f32_f16 v3, v61, v55, v109
	;; [unrolled: 1-line block ×4, first 2 shown]
	v_cvt_f32_f16_e32 v55, v53
	v_max_f32_e32 v81, 0, v45
	s_and_b64 s[2:3], s[2:3], s[0:1]
	v_dot2_f32_f16 v2, v61, v54, v108
	v_add_f32_e32 v45, v121, v55
	v_add_lshl_u32 v61, v47, s6, 1
	v_max_f32_e32 v62, 0, v45
	v_cvt_f32_f16_sdwa v45, v53 dst_sel:DWORD dst_unused:UNUSED_PAD src0_sel:WORD_1
	s_waitcnt vmcnt(4)
	v_cndmask_b32_e64 v53, 0, v77, s[2:3]
	buffer_load_dwordx2 v[90:91], v61, s[24:27], 0 offen
	v_cvt_f32_f16_e32 v55, v53
	v_add_u32_e32 v47, s18, v47
	v_lshlrev_b32_e32 v61, 1, v47
	buffer_load_dwordx2 v[92:93], v61, s[24:27], 0 offen
	v_add_f32_e32 v45, v122, v45
	v_max_f32_e32 v72, 0, v45
	v_add_f32_e32 v45, v94, v55
	v_cvt_f32_f16_sdwa v53, v53 dst_sel:DWORD dst_unused:UNUSED_PAD src0_sel:WORD_1
	v_or_b32_e32 v55, 2, v31
	v_cndmask_b32_e64 v76, 0, v78, s[2:3]
	v_cmp_gt_i32_e64 s[2:3], s13, v55
	v_add_lshl_u32 v61, v47, s6, 1
	v_dot2_f32_f16 v20, v64, v54, v117
	v_cndmask_b32_e64 v54, 0, v71, s[4:5]
	buffer_load_dwordx2 v[94:95], v61, s[24:27], 0 offen
	s_and_b64 s[4:5], s[2:3], vcc
	s_waitcnt vmcnt(6)
	v_cndmask_b32_e64 v61, 0, v82, s[4:5]
	v_max_f32_e32 v99, 0, v45
	v_add_f32_e32 v45, v96, v53
	v_cvt_f32_f16_sdwa v53, v61 dst_sel:DWORD dst_unused:UNUSED_PAD src0_sel:WORD_1
	v_cvt_f32_f16_e32 v64, v61
	v_add_u32_e32 v47, s18, v47
	v_max_f32_e32 v100, 0, v45
	v_add_f32_e32 v36, v36, v53
	v_add_f32_e32 v45, v123, v64
	v_lshlrev_b32_e32 v61, 1, v47
	s_and_b64 s[2:3], s[2:3], s[0:1]
	v_max_f32_e32 v79, 0, v36
	v_add_lshl_u32 v36, v47, s6, 1
	v_cndmask_b32_e64 v67, 0, v83, s[4:5]
	buffer_load_dwordx2 v[96:97], v61, s[24:27], 0 offen
	v_max_f32_e32 v78, 0, v45
	v_cndmask_b32_e64 v45, 0, v84, s[2:3]
	buffer_load_dwordx2 v[83:84], v36, s[24:27], 0 offen
	v_cvt_f32_f16_e32 v53, v45
	v_cndmask_b32_e64 v65, 0, v85, s[2:3]
	v_add_u32_e32 v47, s18, v47
	v_lshlrev_b32_e32 v70, 1, v47
	v_add_f32_e32 v36, v57, v53
	v_or_b32_e32 v57, 3, v31
	v_cmp_gt_i32_e64 s[2:3], s13, v57
	s_and_b64 s[4:5], s[2:3], vcc
	s_waitcnt vmcnt(7)
	v_cndmask_b32_e64 v61, 0, v86, s[4:5]
	buffer_load_dwordx2 v[85:86], v70, s[24:27], 0 offen
	v_cvt_f32_f16_sdwa v45, v45 dst_sel:DWORD dst_unused:UNUSED_PAD src0_sel:WORD_1
	s_and_b64 s[2:3], s[2:3], s[0:1]
	v_add_lshl_u32 v47, v47, s6, 1
	v_cndmask_b32_e64 v53, 0, v87, s[4:5]
	v_max_f32_e32 v82, 0, v36
	v_add_f32_e32 v36, v124, v45
	s_waitcnt vmcnt(7)
	v_cndmask_b32_e64 v45, 0, v88, s[2:3]
	buffer_load_dwordx2 v[87:88], v47, s[24:27], 0 offen
	v_max_f32_e32 v101, 0, v36
	v_cvt_f32_f16_sdwa v36, v61 dst_sel:DWORD dst_unused:UNUSED_PAD src0_sel:WORD_1
	v_cvt_f32_f16_e32 v47, v45
	v_cndmask_b32_e64 v77, 0, v89, s[2:3]
	v_cvt_f32_f16_e32 v64, v61
	v_add_f32_e32 v26, v26, v36
	v_max_f32_e32 v71, 0, v26
	v_or_b32_e32 v26, 64, v31
	v_cmp_gt_i32_e64 s[2:3], s13, v26
	s_and_b64 s[4:5], s[2:3], vcc
	v_cvt_f32_f16_sdwa v36, v45 dst_sel:DWORD dst_unused:UNUSED_PAD src0_sel:WORD_1
	s_waitcnt vmcnt(7)
	v_cndmask_b32_e64 v45, 0, v48, s[4:5]
	v_add_f32_e32 v35, v35, v47
	v_cvt_f32_f16_e32 v47, v45
	v_add_f32_e32 v28, v28, v36
	v_max_f32_e32 v102, 0, v28
	s_and_b64 s[2:3], s[2:3], s[0:1]
	v_add_f32_e32 v28, v29, v47
	v_cvt_f32_f16_sdwa v29, v45 dst_sel:DWORD dst_unused:UNUSED_PAD src0_sel:WORD_1
	v_add_f32_e32 v27, v27, v64
	v_max_f32_e32 v89, 0, v35
	v_max_f32_e32 v70, 0, v27
	v_add_f32_e32 v29, v30, v29
	v_or_b32_e32 v30, 0x41, v31
	v_cndmask_b32_e64 v27, 0, v49, s[4:5]
	s_lshl_b32 s18, s14, 1
	s_and_b32 s17, s11, 0xffff
	s_waitcnt vmcnt(6)
	v_cndmask_b32_e64 v35, 0, v91, s[2:3]
	v_cndmask_b32_e64 v36, 0, v90, s[2:3]
	v_cmp_gt_i32_e64 s[2:3], s13, v30
	s_and_b64 s[4:5], s[2:3], vcc
	v_cvt_f32_f16_e32 v45, v36
	v_cvt_f32_f16_sdwa v48, v36 dst_sel:DWORD dst_unused:UNUSED_PAD src0_sel:WORD_1
	s_waitcnt vmcnt(5)
	v_cndmask_b32_e64 v49, 0, v92, s[4:5]
	v_cvt_f32_f16_e32 v61, v49
	s_and_b64 s[2:3], s[2:3], s[0:1]
	v_add_f32_e32 v47, v98, v45
	v_add_f32_e32 v37, v37, v48
	v_cvt_f32_f16_sdwa v48, v49 dst_sel:DWORD dst_unused:UNUSED_PAD src0_sel:WORD_1
	v_max_f32_e32 v36, 0, v47
	v_add_f32_e32 v47, v42, v61
	v_cndmask_b32_e64 v45, 0, v93, s[4:5]
	s_waitcnt vmcnt(4)
	v_cndmask_b32_e64 v49, 0, v94, s[2:3]
	v_cvt_f32_f16_e32 v61, v49
	v_add_f32_e32 v43, v43, v48
	v_max_f32_e32 v48, 0, v43
	v_cndmask_b32_e64 v42, 0, v95, s[2:3]
	v_add_f32_e32 v43, v46, v61
	v_cvt_f32_f16_sdwa v61, v49 dst_sel:DWORD dst_unused:UNUSED_PAD src0_sel:WORD_1
	v_or_b32_e32 v46, 0x42, v31
	v_cmp_gt_i32_e64 s[2:3], s13, v46
	s_and_b64 s[4:5], s[2:3], vcc
	s_and_b64 s[2:3], s[2:3], s[0:1]
	v_add_f32_e32 v44, v44, v61
	s_mov_b32 s19, s23
	v_max_f32_e32 v47, 0, v47
	v_max_f32_e32 v43, 0, v43
	;; [unrolled: 1-line block ×3, first 2 shown]
	s_waitcnt vmcnt(3)
	v_cndmask_b32_e64 v64, 0, v96, s[4:5]
	v_cvt_f32_f16_e32 v90, v64
	v_cvt_f32_f16_sdwa v64, v64 dst_sel:DWORD dst_unused:UNUSED_PAD src0_sel:WORD_1
	s_waitcnt vmcnt(2)
	v_cndmask_b32_e64 v83, 0, v83, s[2:3]
	v_cndmask_b32_e64 v61, 0, v84, s[2:3]
	v_cvt_f32_f16_e32 v84, v83
	v_add_f32_e32 v51, v51, v64
	v_cvt_f32_f16_sdwa v83, v83 dst_sel:DWORD dst_unused:UNUSED_PAD src0_sel:WORD_1
	v_cndmask_b32_e64 v49, 0, v97, s[4:5]
	v_add_f32_e32 v64, v58, v84
	v_or_b32_e32 v58, 0x43, v31
	v_cmp_gt_i32_e64 s[2:3], s13, v58
	s_and_b64 vcc, s[2:3], vcc
	s_waitcnt vmcnt(1)
	v_cndmask_b32_e32 v85, 0, v85, vcc
	v_cndmask_b32_e32 v84, 0, v86, vcc
	v_cvt_f32_f16_e32 v86, v85
	v_cvt_f32_f16_sdwa v85, v85 dst_sel:DWORD dst_unused:UNUSED_PAD src0_sel:WORD_1
	s_and_b64 vcc, s[2:3], s[0:1]
	v_add_f32_e32 v66, v66, v83
	v_add_f32_e32 v56, v56, v86
	;; [unrolled: 1-line block ×3, first 2 shown]
	s_waitcnt vmcnt(0)
	v_cndmask_b32_e32 v86, 0, v87, vcc
	v_cvt_f32_f16_e32 v87, v86
	v_cvt_f32_f16_sdwa v85, v86 dst_sel:DWORD dst_unused:UNUSED_PAD src0_sel:WORD_1
	v_max_f32_e32 v86, 0, v60
	v_max_f32_e32 v83, 0, v56
	v_add_f32_e32 v60, v69, v87
	v_max_f32_e32 v87, 0, v60
	v_add_f32_e32 v60, v68, v85
	v_cvt_f32_f16_sdwa v68, v73 dst_sel:DWORD dst_unused:UNUSED_PAD src0_sel:WORD_1
	v_cvt_f32_f16_e32 v69, v73
	v_max_f32_e32 v85, 0, v60
	v_mul_lo_u32 v60, v31, s8
	v_add_f32_e32 v41, v41, v68
	v_add_f32_e32 v40, v40, v69
	v_max_f32_e32 v40, 0, v40
	v_max_f32_e32 v41, 0, v41
	v_cvt_f16_f32_e32 v73, v75
	v_cvt_f16_f32_e32 v75, v80
	;; [unrolled: 1-line block ×4, first 2 shown]
	v_mad_u64_u32 v[40:41], s[0:1], v34, s9, v[60:61]
	v_cndmask_b32_e32 v56, 0, v88, vcc
	v_cmp_gt_i32_e32 vcc, s12, v34
	v_cmp_gt_i32_e64 s[2:3], s10, v31
	v_bfrev_b32_e32 v31, 1
	s_and_b64 s[0:1], s[2:3], vcc
	v_cndmask_b32_e64 v34, v31, 0, s[0:1]
	v_pack_b32_f16 v68, v73, v75
	v_pack_b32_f16 v69, v80, v69
	v_lshl_add_u32 v34, v40, 1, v34
	buffer_store_dwordx2 v[68:69], v34, s[16:19], 0 offen
	v_cvt_f32_f16_sdwa v34, v63 dst_sel:DWORD dst_unused:UNUSED_PAD src0_sel:WORD_1
	v_cvt_f32_f16_e32 v41, v63
	v_cvt_f16_f32_e32 v60, v74
	v_cvt_f16_f32_e32 v63, v81
	v_add_f32_e32 v34, v39, v34
	v_add_f32_e32 v38, v38, v41
	v_max_f32_e32 v38, 0, v38
	v_max_f32_e32 v34, 0, v34
	v_cvt_f16_f32_e32 v34, v34
	v_cvt_f16_f32_e32 v39, v38
	v_pack_b32_f16 v38, v60, v63
	v_cmp_gt_i32_e64 s[0:1], s12, v52
	v_cvt_f32_f16_sdwa v52, v76 dst_sel:DWORD dst_unused:UNUSED_PAD src0_sel:WORD_1
	v_cvt_f32_f16_e32 v60, v76
	s_lshl_b32 s4, s9, 6
	s_and_b64 s[2:3], s[2:3], s[0:1]
	v_add_u32_e32 v41, s4, v40
	v_pack_b32_f16 v39, v39, v34
	v_cndmask_b32_e64 v34, v31, 0, s[2:3]
	v_lshl_add_u32 v34, v41, 1, v34
	v_add_f32_e32 v33, v33, v52
	v_add_f32_e32 v32, v32, v60
	buffer_store_dwordx2 v[38:39], v34, s[16:19], 0 offen
	v_add_u32_e32 v34, s8, v41
	v_cvt_f32_f16_sdwa v39, v54 dst_sel:DWORD dst_unused:UNUSED_PAD src0_sel:WORD_1
	v_cvt_f32_f16_e32 v41, v54
	v_max_f32_e32 v32, 0, v32
	v_max_f32_e32 v33, 0, v33
	v_cvt_f16_f32_e32 v33, v33
	v_cvt_f16_f32_e32 v52, v32
	;; [unrolled: 1-line block ×4, first 2 shown]
	v_add_f32_e32 v25, v25, v39
	v_add_f32_e32 v24, v24, v41
	v_cmp_gt_i32_e64 s[2:3], s10, v59
	v_max_f32_e32 v24, 0, v24
	v_max_f32_e32 v25, 0, v25
	v_pack_b32_f16 v33, v52, v33
	s_and_b64 s[6:7], s[2:3], s[0:1]
	v_cvt_f16_f32_e32 v52, v62
	v_cvt_f16_f32_e32 v54, v72
	v_cvt_f16_f32_e32 v25, v25
	v_cvt_f16_f32_e32 v39, v24
	v_cndmask_b32_e64 v38, v31, 0, s[6:7]
	v_pack_b32_f16 v32, v63, v68
	v_lshl_add_u32 v38, v34, 1, v38
	s_and_b64 s[2:3], s[2:3], vcc
	buffer_store_dwordx2 v[32:33], v38, s[16:19], 0 offen
	v_add_u32_e32 v32, s8, v40
	v_cndmask_b32_e64 v33, v31, 0, s[2:3]
	v_cmp_gt_i32_e64 s[2:3], s10, v55
	v_pack_b32_f16 v24, v52, v54
	v_pack_b32_f16 v25, v39, v25
	v_lshl_add_u32 v33, v32, 1, v33
	s_and_b64 s[6:7], s[2:3], vcc
	v_cvt_f32_f16_sdwa v38, v67 dst_sel:DWORD dst_unused:UNUSED_PAD src0_sel:WORD_1
	v_cvt_f32_f16_e32 v39, v67
	buffer_store_dwordx2 v[24:25], v33, s[16:19], 0 offen
	v_add_u32_e32 v24, s8, v32
	v_cndmask_b32_e64 v25, v31, 0, s[6:7]
	v_lshl_add_u32 v24, v24, 1, v25
	v_cvt_f32_f16_sdwa v25, v65 dst_sel:DWORD dst_unused:UNUSED_PAD src0_sel:WORD_1
	v_cvt_f32_f16_e32 v32, v65
	v_add_f32_e32 v19, v19, v38
	v_add_f32_e32 v18, v18, v39
	v_max_f32_e32 v18, 0, v18
	v_max_f32_e32 v19, 0, v19
	v_add_f32_e32 v23, v23, v25
	v_add_f32_e32 v22, v22, v32
	v_cvt_f16_f32_e32 v40, v78
	v_cvt_f16_f32_e32 v41, v79
	;; [unrolled: 1-line block ×4, first 2 shown]
	v_max_f32_e32 v22, 0, v22
	v_max_f32_e32 v23, 0, v23
	v_cvt_f16_f32_e32 v23, v23
	v_cvt_f16_f32_e32 v22, v22
	v_pack_b32_f16 v18, v40, v41
	v_pack_b32_f16 v19, v38, v19
	buffer_store_dwordx2 v[18:19], v24, s[16:19], 0 offen
	v_pack_b32_f16 v19, v22, v23
	v_cvt_f32_f16_sdwa v23, v77 dst_sel:DWORD dst_unused:UNUSED_PAD src0_sel:WORD_1
	v_cvt_f32_f16_e32 v25, v77
	v_cvt_f16_f32_e32 v33, v82
	v_cvt_f16_f32_e32 v38, v101
	v_add_f32_e32 v17, v17, v23
	v_add_f32_e32 v16, v16, v25
	v_max_f32_e32 v16, 0, v16
	v_max_f32_e32 v17, 0, v17
	v_cvt_f16_f32_e32 v17, v17
	v_cvt_f16_f32_e32 v23, v16
	s_and_b64 s[2:3], s[2:3], s[0:1]
	v_add_u32_e32 v24, s8, v34
	v_cndmask_b32_e64 v22, v31, 0, s[2:3]
	v_pack_b32_f16 v18, v33, v38
	v_lshl_add_u32 v22, v24, 1, v22
	buffer_store_dwordx2 v[18:19], v22, s[16:19], 0 offen
	v_pack_b32_f16 v17, v23, v17
	v_cvt_f32_f16_sdwa v22, v53 dst_sel:DWORD dst_unused:UNUSED_PAD src0_sel:WORD_1
	v_cvt_f32_f16_e32 v23, v53
	v_cvt_f16_f32_e32 v32, v89
	v_cvt_f16_f32_e32 v33, v102
	v_add_f32_e32 v11, v11, v22
	v_add_f32_e32 v10, v10, v23
	v_cmp_gt_i32_e64 s[2:3], s10, v57
	v_max_f32_e32 v10, 0, v10
	v_max_f32_e32 v11, 0, v11
	v_pack_b32_f16 v16, v32, v33
	s_and_b64 s[6:7], s[2:3], s[0:1]
	v_cvt_f16_f32_e32 v25, v70
	v_cvt_f16_f32_e32 v32, v71
	;; [unrolled: 1-line block ×4, first 2 shown]
	v_add_u32_e32 v18, s8, v24
	v_cndmask_b32_e64 v19, v31, 0, s[6:7]
	v_lshl_add_u32 v19, v18, 1, v19
	s_and_b64 s[2:3], s[2:3], vcc
	buffer_store_dwordx2 v[16:17], v19, s[16:19], 0 offen
	v_subrev_u32_e32 v16, s4, v18
	v_cndmask_b32_e64 v17, v31, 0, s[2:3]
	v_pack_b32_f16 v10, v25, v32
	v_pack_b32_f16 v11, v22, v11
	v_lshl_add_u32 v17, v16, 1, v17
	buffer_store_dwordx2 v[10:11], v17, s[16:19], 0 offen
	v_cvt_f32_f16_sdwa v10, v84 dst_sel:DWORD dst_unused:UNUSED_PAD src0_sel:WORD_1
	v_cvt_f32_f16_e32 v11, v84
	v_cmp_gt_i32_e64 s[2:3], s10, v58
	s_lshl_b32 s5, s8, 6
	v_add_f32_e32 v10, v15, v10
	v_add_f32_e32 v11, v14, v11
	v_max_f32_e32 v11, 0, v11
	v_max_f32_e32 v10, 0, v10
	v_cvt_f16_f32_e32 v14, v10
	v_cvt_f16_f32_e32 v11, v11
	s_and_b64 s[6:7], s[2:3], vcc
	v_add_u32_e32 v15, s5, v16
	v_cvt_f32_f16_e32 v16, v56
	v_pack_b32_f16 v11, v11, v14
	v_cndmask_b32_e64 v14, v31, 0, s[6:7]
	v_lshl_add_u32 v14, v15, 1, v14
	v_cvt_f32_f16_sdwa v15, v56 dst_sel:DWORD dst_unused:UNUSED_PAD src0_sel:WORD_1
	v_add_f32_e32 v16, v20, v16
	v_cvt_f16_f32_e32 v17, v83
	v_cvt_f16_f32_e32 v19, v86
	v_add_f32_e32 v15, v21, v15
	v_max_f32_e32 v16, 0, v16
	v_max_f32_e32 v15, 0, v15
	v_cvt_f16_f32_e32 v15, v15
	v_cvt_f16_f32_e32 v16, v16
	v_pack_b32_f16 v10, v17, v19
	s_and_b64 s[2:3], s[2:3], s[0:1]
	buffer_store_dwordx2 v[10:11], v14, s[16:19], 0 offen
	v_add_u32_e32 v14, s5, v18
	v_pack_b32_f16 v11, v16, v15
	v_cndmask_b32_e64 v15, v31, 0, s[2:3]
	v_lshl_add_u32 v14, v14, 1, v15
	v_cvt_f32_f16_sdwa v15, v61 dst_sel:DWORD dst_unused:UNUSED_PAD src0_sel:WORD_1
	v_cvt_f32_f16_e32 v16, v61
	v_cvt_f16_f32_e32 v17, v87
	v_cvt_f16_f32_e32 v19, v85
	v_add_f32_e32 v13, v13, v15
	v_add_f32_e32 v12, v12, v16
	v_max_f32_e32 v12, 0, v12
	v_max_f32_e32 v13, 0, v13
	v_cvt_f16_f32_e32 v13, v13
	v_cvt_f16_f32_e32 v12, v12
	v_pack_b32_f16 v10, v17, v19
	buffer_store_dwordx2 v[10:11], v14, s[16:19], 0 offen
	v_cvt_f32_f16_e32 v15, v49
	v_pack_b32_f16 v11, v12, v13
	v_cvt_f32_f16_sdwa v13, v49 dst_sel:DWORD dst_unused:UNUSED_PAD src0_sel:WORD_1
	v_max_f32_e32 v64, 0, v64
	v_max_f32_e32 v66, 0, v66
	v_cvt_f16_f32_e32 v17, v64
	v_cvt_f16_f32_e32 v18, v66
	v_add_f32_e32 v50, v50, v90
	v_add_f32_e32 v9, v9, v13
	v_add_f32_e32 v8, v8, v15
	v_max_f32_e32 v50, 0, v50
	v_max_f32_e32 v51, 0, v51
	v_cmp_ge_i32_e64 s[2:3], s10, v58
	v_max_f32_e32 v8, 0, v8
	v_max_f32_e32 v9, 0, v9
	v_pack_b32_f16 v10, v17, v18
	s_and_b64 s[2:3], s[2:3], s[0:1]
	v_cvt_f16_f32_e32 v16, v50
	v_cvt_f16_f32_e32 v17, v51
	;; [unrolled: 1-line block ×4, first 2 shown]
	v_add_u32_e32 v14, s5, v24
	v_cndmask_b32_e64 v12, v31, 0, s[2:3]
	v_cmp_gt_i32_e64 s[2:3], s10, v46
	v_lshl_add_u32 v12, v14, 1, v12
	s_and_b64 s[2:3], s[2:3], vcc
	buffer_store_dwordx2 v[10:11], v12, s[16:19], 0 offen
	v_subrev_u32_e32 v10, s4, v14
	v_cndmask_b32_e64 v11, v31, 0, s[2:3]
	v_pack_b32_f16 v8, v16, v17
	v_pack_b32_f16 v9, v13, v9
	v_lshl_add_u32 v11, v10, 1, v11
	v_cvt_f32_f16_sdwa v12, v45 dst_sel:DWORD dst_unused:UNUSED_PAD src0_sel:WORD_1
	v_cvt_f32_f16_e32 v13, v45
	buffer_store_dwordx2 v[8:9], v11, s[16:19], 0 offen
	v_subrev_u32_e32 v8, s8, v10
	v_cvt_f32_f16_sdwa v10, v42 dst_sel:DWORD dst_unused:UNUSED_PAD src0_sel:WORD_1
	v_cvt_f32_f16_e32 v11, v42
	v_add_f32_e32 v5, v5, v12
	v_add_f32_e32 v4, v4, v13
	v_max_f32_e32 v4, 0, v4
	v_max_f32_e32 v5, 0, v5
	v_add_f32_e32 v7, v7, v10
	v_add_f32_e32 v6, v6, v11
	v_cvt_f16_f32_e32 v14, v47
	v_cvt_f16_f32_e32 v15, v48
	;; [unrolled: 1-line block ×4, first 2 shown]
	v_max_f32_e32 v6, 0, v6
	v_max_f32_e32 v7, 0, v7
	v_cmp_ge_i32_e64 s[2:3], s10, v46
	v_cvt_f16_f32_e32 v7, v7
	v_cvt_f16_f32_e32 v6, v6
	s_and_b64 s[2:3], s[2:3], vcc
	v_cndmask_b32_e64 v9, v31, 0, s[2:3]
	v_pack_b32_f16 v4, v14, v15
	v_pack_b32_f16 v5, v12, v5
	v_lshl_add_u32 v9, v8, 1, v9
	buffer_store_dwordx2 v[4:5], v9, s[16:19], 0 offen
	v_pack_b32_f16 v5, v6, v7
	v_cvt_f32_f16_sdwa v7, v35 dst_sel:DWORD dst_unused:UNUSED_PAD src0_sel:WORD_1
	v_cvt_f32_f16_e32 v9, v35
	v_cvt_f16_f32_e32 v12, v43
	v_cvt_f16_f32_e32 v13, v44
	v_add_f32_e32 v3, v3, v7
	v_add_f32_e32 v2, v2, v9
	v_max_f32_e32 v2, 0, v2
	v_max_f32_e32 v3, 0, v3
	v_cmp_gt_i32_e64 s[2:3], s10, v30
	v_cvt_f16_f32_e32 v3, v3
	v_cvt_f16_f32_e32 v7, v2
	s_and_b64 s[2:3], s[2:3], s[0:1]
	v_add_u32_e32 v8, s4, v8
	v_cndmask_b32_e64 v6, v31, 0, s[2:3]
	v_pack_b32_f16 v4, v12, v13
	v_lshl_add_u32 v6, v8, 1, v6
	buffer_store_dwordx2 v[4:5], v6, s[16:19], 0 offen
	v_pack_b32_f16 v3, v7, v3
	v_cvt_f32_f16_sdwa v6, v27 dst_sel:DWORD dst_unused:UNUSED_PAD src0_sel:WORD_1
	v_cvt_f32_f16_e32 v7, v27
	v_max_f32_e32 v37, 0, v37
	v_cvt_f16_f32_e32 v10, v36
	v_cvt_f16_f32_e32 v11, v37
	v_add_f32_e32 v1, v1, v6
	v_add_f32_e32 v0, v0, v7
	v_max_f32_e32 v28, 0, v28
	v_max_f32_e32 v29, 0, v29
	v_cmp_ge_i32_e64 s[2:3], s10, v30
	v_max_f32_e32 v0, 0, v0
	v_max_f32_e32 v1, 0, v1
	v_subrev_u32_e32 v4, s8, v8
	s_and_b64 s[0:1], s[2:3], s[0:1]
	v_cvt_f16_f32_e32 v8, v28
	v_cvt_f16_f32_e32 v9, v29
	;; [unrolled: 1-line block ×4, first 2 shown]
	v_cndmask_b32_e64 v5, v31, 0, s[0:1]
	v_cmp_gt_i32_e64 s[0:1], s10, v26
	v_pack_b32_f16 v2, v10, v11
	v_lshl_add_u32 v5, v4, 1, v5
	s_and_b64 s[0:1], s[0:1], vcc
	buffer_store_dwordx2 v[2:3], v5, s[16:19], 0 offen
	v_subrev_u32_e32 v2, s4, v4
	v_cndmask_b32_e64 v3, v31, 0, s[0:1]
	v_pack_b32_f16 v0, v8, v9
	v_pack_b32_f16 v1, v6, v1
	v_lshl_add_u32 v2, v2, 1, v3
	buffer_store_dwordx2 v[0:1], v2, s[16:19], 0 offen
	s_endpgm
	.section	.rodata,"a",@progbits
	.p2align	6, 0x0
	.amdhsa_kernel _ZN2ck16tensor_operation6device12_GLOBAL__N_137kernel_grouped_conv_fwd_dl_multiple_dINS_32GridwiseGemmDlMultipleD_km_kn_mnILi256EDF16_fNS_5TupleIJDF16_EEEDF16_NS0_12element_wise11PassThroughES8_NS7_7AddReluELNS_25InMemoryDataOperationEnumE0ENS_16TensorDescriptorINS5_IJNS_5EmbedINS5_IJiiiEEESD_Lb0EEENS_11PassThroughIiEENS_3PadIiiiLb0EEESG_SG_NSC_INS5_IJiiEEESJ_Lb0EEESG_NS_23Merge_v2_magic_divisionISJ_EESM_NS_8RightPadIiiLb0EEESO_NS_7UnMergeISJ_Lb0EEESG_EEENS5_IJNS_8SequenceIJLi0EEEENSS_IJLi1EEEENSS_IJLi2EEEENSS_IJLi3EEEENSS_IJLi4EEEENSS_IJLi5EEEENSS_IJLi6EEEENSS_IJLi7ELi9EEEENSS_IJLi8ELi10EEEENSS_IJLi11EEEENSS_IJLi12EEEENSS_IJLi14EEEENSS_IJLi13EEEEEEENS5_IJNSS_IJLi1ELi2ELi3EEEESX_SY_SZ_NSS_IJLi7EEEENSS_IJLi8ELi9EEEENSS_IJLi10EEEES12_S13_S15_S14_NSS_IJLi15ELi16EEEENSS_IJLi17EEEEEEENSS_IJLi15ELi17ELi16EEEElEENSB_INS5_IJSQ_SO_SO_SQ_SG_EEENS5_IJST_SU_SV_SX_SW_EEENS5_IJNSS_IJLi1ELi2EEEESW_SX_NSS_IJLi5ELi6EEEES18_EEENSS_IJLi5ELi7ELi6EEEElEENSB_INS5_IJSK_SO_SO_EEENS5_IJST_SU_SV_EEENS5_IJS1I_SW_SX_EEENSS_IJLi3ELi4EEEElEELi128ELi128ELi16ELi2ELi4ELi4ELi1ENSS_IJLi8ELi2EEEES1S_NSS_IJLi8ELi1ELi1ELi2EEEENSS_IJLi2ELi1ELi128ELi1EEEENSS_IJLi1ELi2ELi0ELi3EEEES1V_NSS_IJLi4ELi1ELi1ELi2EEEES1V_NSS_IJLi1ELi1ELi1ELi2EEEES1T_S1U_S1V_S1V_S1W_S1V_S1X_NSS_IJLi0ELi1ELi2ELi3ELi4ELi5EEEELi5ELi4EEEDF16_NS5_IJPKDF16_EEEDF16_S8_S8_S9_NSB_INS5_IJSE_SG_SI_SG_SG_SK_SG_SM_SM_SO_SO_SQ_SG_SG_NSP_INS5_IJiNS_17integral_constantIiLi128EEEEEELb0EEENSF_INS23_IiLi2EEEEEEEENS5_IJST_SU_SV_SW_SX_SY_SZ_S10_S11_S12_S13_S14_S15_NSS_IJLi15EEEES1C_NSS_IJLi16EEEEEEENS5_IJS17_SX_SY_SZ_S18_S19_S1A_S12_S13_S15_S14_S1B_S1C_NSS_IJLi18EEEENSS_IJLi19ELi20EEEENSS_IJLi21EEEEEEENSS_IJLi18ELi19ELi20ELi21EEEElEENSB_INS5_IJSQ_SO_SO_SQ_SG_SG_S26_S28_EEENS5_IJST_SU_SV_SX_SW_SY_S18_SZ_EEENS5_IJS1I_SW_SX_S1J_S18_NSS_IJLi8EEEENSS_IJLi9ELi10EEEES12_EEENSS_IJLi8ELi9ELi10ELi11EEEElEENS5_IJNSB_INS5_IJSK_SO_SO_NSP_INS5_IJiS27_NS23_IiLi64EEEEEELb0EEES2S_EEENS5_IJST_SU_SV_SW_SX_EEENS5_IJS1I_SW_SX_NSS_IJLi5ELi6ELi7EEEENSS_IJLi8ELi9ELi10EEEEEEENSS_IJLi5ELi6ELi7ELi8ELi9ELi10EEEElEEEEES2Z_NS_31BlockToCTileMap_M00_N00_M01_N01ILi128ELi128ES1R_Lb0EEENS1_30ComputePtrOffsetOfStridedBatchILi1ELi1ELi1EvEELb0ELb1EEEvPKT0_S37_T1_PT2_T3_T4_T5_iT6_T7_T8_T9_T10_T11_
		.amdhsa_group_segment_fixed_size 32768
		.amdhsa_private_segment_fixed_size 0
		.amdhsa_kernarg_size 904
		.amdhsa_user_sgpr_count 6
		.amdhsa_user_sgpr_private_segment_buffer 1
		.amdhsa_user_sgpr_dispatch_ptr 0
		.amdhsa_user_sgpr_queue_ptr 0
		.amdhsa_user_sgpr_kernarg_segment_ptr 1
		.amdhsa_user_sgpr_dispatch_id 0
		.amdhsa_user_sgpr_flat_scratch_init 0
		.amdhsa_user_sgpr_private_segment_size 0
		.amdhsa_uses_dynamic_stack 0
		.amdhsa_system_sgpr_private_segment_wavefront_offset 0
		.amdhsa_system_sgpr_workgroup_id_x 1
		.amdhsa_system_sgpr_workgroup_id_y 0
		.amdhsa_system_sgpr_workgroup_id_z 0
		.amdhsa_system_sgpr_workgroup_info 0
		.amdhsa_system_vgpr_workitem_id 0
		.amdhsa_next_free_vgpr 125
		.amdhsa_next_free_sgpr 98
		.amdhsa_reserve_vcc 1
		.amdhsa_reserve_flat_scratch 0
		.amdhsa_float_round_mode_32 0
		.amdhsa_float_round_mode_16_64 0
		.amdhsa_float_denorm_mode_32 3
		.amdhsa_float_denorm_mode_16_64 3
		.amdhsa_dx10_clamp 1
		.amdhsa_ieee_mode 1
		.amdhsa_fp16_overflow 0
		.amdhsa_exception_fp_ieee_invalid_op 0
		.amdhsa_exception_fp_denorm_src 0
		.amdhsa_exception_fp_ieee_div_zero 0
		.amdhsa_exception_fp_ieee_overflow 0
		.amdhsa_exception_fp_ieee_underflow 0
		.amdhsa_exception_fp_ieee_inexact 0
		.amdhsa_exception_int_div_zero 0
	.end_amdhsa_kernel
	.section	.text._ZN2ck16tensor_operation6device12_GLOBAL__N_137kernel_grouped_conv_fwd_dl_multiple_dINS_32GridwiseGemmDlMultipleD_km_kn_mnILi256EDF16_fNS_5TupleIJDF16_EEEDF16_NS0_12element_wise11PassThroughES8_NS7_7AddReluELNS_25InMemoryDataOperationEnumE0ENS_16TensorDescriptorINS5_IJNS_5EmbedINS5_IJiiiEEESD_Lb0EEENS_11PassThroughIiEENS_3PadIiiiLb0EEESG_SG_NSC_INS5_IJiiEEESJ_Lb0EEESG_NS_23Merge_v2_magic_divisionISJ_EESM_NS_8RightPadIiiLb0EEESO_NS_7UnMergeISJ_Lb0EEESG_EEENS5_IJNS_8SequenceIJLi0EEEENSS_IJLi1EEEENSS_IJLi2EEEENSS_IJLi3EEEENSS_IJLi4EEEENSS_IJLi5EEEENSS_IJLi6EEEENSS_IJLi7ELi9EEEENSS_IJLi8ELi10EEEENSS_IJLi11EEEENSS_IJLi12EEEENSS_IJLi14EEEENSS_IJLi13EEEEEEENS5_IJNSS_IJLi1ELi2ELi3EEEESX_SY_SZ_NSS_IJLi7EEEENSS_IJLi8ELi9EEEENSS_IJLi10EEEES12_S13_S15_S14_NSS_IJLi15ELi16EEEENSS_IJLi17EEEEEEENSS_IJLi15ELi17ELi16EEEElEENSB_INS5_IJSQ_SO_SO_SQ_SG_EEENS5_IJST_SU_SV_SX_SW_EEENS5_IJNSS_IJLi1ELi2EEEESW_SX_NSS_IJLi5ELi6EEEES18_EEENSS_IJLi5ELi7ELi6EEEElEENSB_INS5_IJSK_SO_SO_EEENS5_IJST_SU_SV_EEENS5_IJS1I_SW_SX_EEENSS_IJLi3ELi4EEEElEELi128ELi128ELi16ELi2ELi4ELi4ELi1ENSS_IJLi8ELi2EEEES1S_NSS_IJLi8ELi1ELi1ELi2EEEENSS_IJLi2ELi1ELi128ELi1EEEENSS_IJLi1ELi2ELi0ELi3EEEES1V_NSS_IJLi4ELi1ELi1ELi2EEEES1V_NSS_IJLi1ELi1ELi1ELi2EEEES1T_S1U_S1V_S1V_S1W_S1V_S1X_NSS_IJLi0ELi1ELi2ELi3ELi4ELi5EEEELi5ELi4EEEDF16_NS5_IJPKDF16_EEEDF16_S8_S8_S9_NSB_INS5_IJSE_SG_SI_SG_SG_SK_SG_SM_SM_SO_SO_SQ_SG_SG_NSP_INS5_IJiNS_17integral_constantIiLi128EEEEEELb0EEENSF_INS23_IiLi2EEEEEEEENS5_IJST_SU_SV_SW_SX_SY_SZ_S10_S11_S12_S13_S14_S15_NSS_IJLi15EEEES1C_NSS_IJLi16EEEEEEENS5_IJS17_SX_SY_SZ_S18_S19_S1A_S12_S13_S15_S14_S1B_S1C_NSS_IJLi18EEEENSS_IJLi19ELi20EEEENSS_IJLi21EEEEEEENSS_IJLi18ELi19ELi20ELi21EEEElEENSB_INS5_IJSQ_SO_SO_SQ_SG_SG_S26_S28_EEENS5_IJST_SU_SV_SX_SW_SY_S18_SZ_EEENS5_IJS1I_SW_SX_S1J_S18_NSS_IJLi8EEEENSS_IJLi9ELi10EEEES12_EEENSS_IJLi8ELi9ELi10ELi11EEEElEENS5_IJNSB_INS5_IJSK_SO_SO_NSP_INS5_IJiS27_NS23_IiLi64EEEEEELb0EEES2S_EEENS5_IJST_SU_SV_SW_SX_EEENS5_IJS1I_SW_SX_NSS_IJLi5ELi6ELi7EEEENSS_IJLi8ELi9ELi10EEEEEEENSS_IJLi5ELi6ELi7ELi8ELi9ELi10EEEElEEEEES2Z_NS_31BlockToCTileMap_M00_N00_M01_N01ILi128ELi128ES1R_Lb0EEENS1_30ComputePtrOffsetOfStridedBatchILi1ELi1ELi1EvEELb0ELb1EEEvPKT0_S37_T1_PT2_T3_T4_T5_iT6_T7_T8_T9_T10_T11_,"axG",@progbits,_ZN2ck16tensor_operation6device12_GLOBAL__N_137kernel_grouped_conv_fwd_dl_multiple_dINS_32GridwiseGemmDlMultipleD_km_kn_mnILi256EDF16_fNS_5TupleIJDF16_EEEDF16_NS0_12element_wise11PassThroughES8_NS7_7AddReluELNS_25InMemoryDataOperationEnumE0ENS_16TensorDescriptorINS5_IJNS_5EmbedINS5_IJiiiEEESD_Lb0EEENS_11PassThroughIiEENS_3PadIiiiLb0EEESG_SG_NSC_INS5_IJiiEEESJ_Lb0EEESG_NS_23Merge_v2_magic_divisionISJ_EESM_NS_8RightPadIiiLb0EEESO_NS_7UnMergeISJ_Lb0EEESG_EEENS5_IJNS_8SequenceIJLi0EEEENSS_IJLi1EEEENSS_IJLi2EEEENSS_IJLi3EEEENSS_IJLi4EEEENSS_IJLi5EEEENSS_IJLi6EEEENSS_IJLi7ELi9EEEENSS_IJLi8ELi10EEEENSS_IJLi11EEEENSS_IJLi12EEEENSS_IJLi14EEEENSS_IJLi13EEEEEEENS5_IJNSS_IJLi1ELi2ELi3EEEESX_SY_SZ_NSS_IJLi7EEEENSS_IJLi8ELi9EEEENSS_IJLi10EEEES12_S13_S15_S14_NSS_IJLi15ELi16EEEENSS_IJLi17EEEEEEENSS_IJLi15ELi17ELi16EEEElEENSB_INS5_IJSQ_SO_SO_SQ_SG_EEENS5_IJST_SU_SV_SX_SW_EEENS5_IJNSS_IJLi1ELi2EEEESW_SX_NSS_IJLi5ELi6EEEES18_EEENSS_IJLi5ELi7ELi6EEEElEENSB_INS5_IJSK_SO_SO_EEENS5_IJST_SU_SV_EEENS5_IJS1I_SW_SX_EEENSS_IJLi3ELi4EEEElEELi128ELi128ELi16ELi2ELi4ELi4ELi1ENSS_IJLi8ELi2EEEES1S_NSS_IJLi8ELi1ELi1ELi2EEEENSS_IJLi2ELi1ELi128ELi1EEEENSS_IJLi1ELi2ELi0ELi3EEEES1V_NSS_IJLi4ELi1ELi1ELi2EEEES1V_NSS_IJLi1ELi1ELi1ELi2EEEES1T_S1U_S1V_S1V_S1W_S1V_S1X_NSS_IJLi0ELi1ELi2ELi3ELi4ELi5EEEELi5ELi4EEEDF16_NS5_IJPKDF16_EEEDF16_S8_S8_S9_NSB_INS5_IJSE_SG_SI_SG_SG_SK_SG_SM_SM_SO_SO_SQ_SG_SG_NSP_INS5_IJiNS_17integral_constantIiLi128EEEEEELb0EEENSF_INS23_IiLi2EEEEEEEENS5_IJST_SU_SV_SW_SX_SY_SZ_S10_S11_S12_S13_S14_S15_NSS_IJLi15EEEES1C_NSS_IJLi16EEEEEEENS5_IJS17_SX_SY_SZ_S18_S19_S1A_S12_S13_S15_S14_S1B_S1C_NSS_IJLi18EEEENSS_IJLi19ELi20EEEENSS_IJLi21EEEEEEENSS_IJLi18ELi19ELi20ELi21EEEElEENSB_INS5_IJSQ_SO_SO_SQ_SG_SG_S26_S28_EEENS5_IJST_SU_SV_SX_SW_SY_S18_SZ_EEENS5_IJS1I_SW_SX_S1J_S18_NSS_IJLi8EEEENSS_IJLi9ELi10EEEES12_EEENSS_IJLi8ELi9ELi10ELi11EEEElEENS5_IJNSB_INS5_IJSK_SO_SO_NSP_INS5_IJiS27_NS23_IiLi64EEEEEELb0EEES2S_EEENS5_IJST_SU_SV_SW_SX_EEENS5_IJS1I_SW_SX_NSS_IJLi5ELi6ELi7EEEENSS_IJLi8ELi9ELi10EEEEEEENSS_IJLi5ELi6ELi7ELi8ELi9ELi10EEEElEEEEES2Z_NS_31BlockToCTileMap_M00_N00_M01_N01ILi128ELi128ES1R_Lb0EEENS1_30ComputePtrOffsetOfStridedBatchILi1ELi1ELi1EvEELb0ELb1EEEvPKT0_S37_T1_PT2_T3_T4_T5_iT6_T7_T8_T9_T10_T11_,comdat
.Lfunc_end3:
	.size	_ZN2ck16tensor_operation6device12_GLOBAL__N_137kernel_grouped_conv_fwd_dl_multiple_dINS_32GridwiseGemmDlMultipleD_km_kn_mnILi256EDF16_fNS_5TupleIJDF16_EEEDF16_NS0_12element_wise11PassThroughES8_NS7_7AddReluELNS_25InMemoryDataOperationEnumE0ENS_16TensorDescriptorINS5_IJNS_5EmbedINS5_IJiiiEEESD_Lb0EEENS_11PassThroughIiEENS_3PadIiiiLb0EEESG_SG_NSC_INS5_IJiiEEESJ_Lb0EEESG_NS_23Merge_v2_magic_divisionISJ_EESM_NS_8RightPadIiiLb0EEESO_NS_7UnMergeISJ_Lb0EEESG_EEENS5_IJNS_8SequenceIJLi0EEEENSS_IJLi1EEEENSS_IJLi2EEEENSS_IJLi3EEEENSS_IJLi4EEEENSS_IJLi5EEEENSS_IJLi6EEEENSS_IJLi7ELi9EEEENSS_IJLi8ELi10EEEENSS_IJLi11EEEENSS_IJLi12EEEENSS_IJLi14EEEENSS_IJLi13EEEEEEENS5_IJNSS_IJLi1ELi2ELi3EEEESX_SY_SZ_NSS_IJLi7EEEENSS_IJLi8ELi9EEEENSS_IJLi10EEEES12_S13_S15_S14_NSS_IJLi15ELi16EEEENSS_IJLi17EEEEEEENSS_IJLi15ELi17ELi16EEEElEENSB_INS5_IJSQ_SO_SO_SQ_SG_EEENS5_IJST_SU_SV_SX_SW_EEENS5_IJNSS_IJLi1ELi2EEEESW_SX_NSS_IJLi5ELi6EEEES18_EEENSS_IJLi5ELi7ELi6EEEElEENSB_INS5_IJSK_SO_SO_EEENS5_IJST_SU_SV_EEENS5_IJS1I_SW_SX_EEENSS_IJLi3ELi4EEEElEELi128ELi128ELi16ELi2ELi4ELi4ELi1ENSS_IJLi8ELi2EEEES1S_NSS_IJLi8ELi1ELi1ELi2EEEENSS_IJLi2ELi1ELi128ELi1EEEENSS_IJLi1ELi2ELi0ELi3EEEES1V_NSS_IJLi4ELi1ELi1ELi2EEEES1V_NSS_IJLi1ELi1ELi1ELi2EEEES1T_S1U_S1V_S1V_S1W_S1V_S1X_NSS_IJLi0ELi1ELi2ELi3ELi4ELi5EEEELi5ELi4EEEDF16_NS5_IJPKDF16_EEEDF16_S8_S8_S9_NSB_INS5_IJSE_SG_SI_SG_SG_SK_SG_SM_SM_SO_SO_SQ_SG_SG_NSP_INS5_IJiNS_17integral_constantIiLi128EEEEEELb0EEENSF_INS23_IiLi2EEEEEEEENS5_IJST_SU_SV_SW_SX_SY_SZ_S10_S11_S12_S13_S14_S15_NSS_IJLi15EEEES1C_NSS_IJLi16EEEEEEENS5_IJS17_SX_SY_SZ_S18_S19_S1A_S12_S13_S15_S14_S1B_S1C_NSS_IJLi18EEEENSS_IJLi19ELi20EEEENSS_IJLi21EEEEEEENSS_IJLi18ELi19ELi20ELi21EEEElEENSB_INS5_IJSQ_SO_SO_SQ_SG_SG_S26_S28_EEENS5_IJST_SU_SV_SX_SW_SY_S18_SZ_EEENS5_IJS1I_SW_SX_S1J_S18_NSS_IJLi8EEEENSS_IJLi9ELi10EEEES12_EEENSS_IJLi8ELi9ELi10ELi11EEEElEENS5_IJNSB_INS5_IJSK_SO_SO_NSP_INS5_IJiS27_NS23_IiLi64EEEEEELb0EEES2S_EEENS5_IJST_SU_SV_SW_SX_EEENS5_IJS1I_SW_SX_NSS_IJLi5ELi6ELi7EEEENSS_IJLi8ELi9ELi10EEEEEEENSS_IJLi5ELi6ELi7ELi8ELi9ELi10EEEElEEEEES2Z_NS_31BlockToCTileMap_M00_N00_M01_N01ILi128ELi128ES1R_Lb0EEENS1_30ComputePtrOffsetOfStridedBatchILi1ELi1ELi1EvEELb0ELb1EEEvPKT0_S37_T1_PT2_T3_T4_T5_iT6_T7_T8_T9_T10_T11_, .Lfunc_end3-_ZN2ck16tensor_operation6device12_GLOBAL__N_137kernel_grouped_conv_fwd_dl_multiple_dINS_32GridwiseGemmDlMultipleD_km_kn_mnILi256EDF16_fNS_5TupleIJDF16_EEEDF16_NS0_12element_wise11PassThroughES8_NS7_7AddReluELNS_25InMemoryDataOperationEnumE0ENS_16TensorDescriptorINS5_IJNS_5EmbedINS5_IJiiiEEESD_Lb0EEENS_11PassThroughIiEENS_3PadIiiiLb0EEESG_SG_NSC_INS5_IJiiEEESJ_Lb0EEESG_NS_23Merge_v2_magic_divisionISJ_EESM_NS_8RightPadIiiLb0EEESO_NS_7UnMergeISJ_Lb0EEESG_EEENS5_IJNS_8SequenceIJLi0EEEENSS_IJLi1EEEENSS_IJLi2EEEENSS_IJLi3EEEENSS_IJLi4EEEENSS_IJLi5EEEENSS_IJLi6EEEENSS_IJLi7ELi9EEEENSS_IJLi8ELi10EEEENSS_IJLi11EEEENSS_IJLi12EEEENSS_IJLi14EEEENSS_IJLi13EEEEEEENS5_IJNSS_IJLi1ELi2ELi3EEEESX_SY_SZ_NSS_IJLi7EEEENSS_IJLi8ELi9EEEENSS_IJLi10EEEES12_S13_S15_S14_NSS_IJLi15ELi16EEEENSS_IJLi17EEEEEEENSS_IJLi15ELi17ELi16EEEElEENSB_INS5_IJSQ_SO_SO_SQ_SG_EEENS5_IJST_SU_SV_SX_SW_EEENS5_IJNSS_IJLi1ELi2EEEESW_SX_NSS_IJLi5ELi6EEEES18_EEENSS_IJLi5ELi7ELi6EEEElEENSB_INS5_IJSK_SO_SO_EEENS5_IJST_SU_SV_EEENS5_IJS1I_SW_SX_EEENSS_IJLi3ELi4EEEElEELi128ELi128ELi16ELi2ELi4ELi4ELi1ENSS_IJLi8ELi2EEEES1S_NSS_IJLi8ELi1ELi1ELi2EEEENSS_IJLi2ELi1ELi128ELi1EEEENSS_IJLi1ELi2ELi0ELi3EEEES1V_NSS_IJLi4ELi1ELi1ELi2EEEES1V_NSS_IJLi1ELi1ELi1ELi2EEEES1T_S1U_S1V_S1V_S1W_S1V_S1X_NSS_IJLi0ELi1ELi2ELi3ELi4ELi5EEEELi5ELi4EEEDF16_NS5_IJPKDF16_EEEDF16_S8_S8_S9_NSB_INS5_IJSE_SG_SI_SG_SG_SK_SG_SM_SM_SO_SO_SQ_SG_SG_NSP_INS5_IJiNS_17integral_constantIiLi128EEEEEELb0EEENSF_INS23_IiLi2EEEEEEEENS5_IJST_SU_SV_SW_SX_SY_SZ_S10_S11_S12_S13_S14_S15_NSS_IJLi15EEEES1C_NSS_IJLi16EEEEEEENS5_IJS17_SX_SY_SZ_S18_S19_S1A_S12_S13_S15_S14_S1B_S1C_NSS_IJLi18EEEENSS_IJLi19ELi20EEEENSS_IJLi21EEEEEEENSS_IJLi18ELi19ELi20ELi21EEEElEENSB_INS5_IJSQ_SO_SO_SQ_SG_SG_S26_S28_EEENS5_IJST_SU_SV_SX_SW_SY_S18_SZ_EEENS5_IJS1I_SW_SX_S1J_S18_NSS_IJLi8EEEENSS_IJLi9ELi10EEEES12_EEENSS_IJLi8ELi9ELi10ELi11EEEElEENS5_IJNSB_INS5_IJSK_SO_SO_NSP_INS5_IJiS27_NS23_IiLi64EEEEEELb0EEES2S_EEENS5_IJST_SU_SV_SW_SX_EEENS5_IJS1I_SW_SX_NSS_IJLi5ELi6ELi7EEEENSS_IJLi8ELi9ELi10EEEEEEENSS_IJLi5ELi6ELi7ELi8ELi9ELi10EEEElEEEEES2Z_NS_31BlockToCTileMap_M00_N00_M01_N01ILi128ELi128ES1R_Lb0EEENS1_30ComputePtrOffsetOfStridedBatchILi1ELi1ELi1EvEELb0ELb1EEEvPKT0_S37_T1_PT2_T3_T4_T5_iT6_T7_T8_T9_T10_T11_
                                        ; -- End function
	.set _ZN2ck16tensor_operation6device12_GLOBAL__N_137kernel_grouped_conv_fwd_dl_multiple_dINS_32GridwiseGemmDlMultipleD_km_kn_mnILi256EDF16_fNS_5TupleIJDF16_EEEDF16_NS0_12element_wise11PassThroughES8_NS7_7AddReluELNS_25InMemoryDataOperationEnumE0ENS_16TensorDescriptorINS5_IJNS_5EmbedINS5_IJiiiEEESD_Lb0EEENS_11PassThroughIiEENS_3PadIiiiLb0EEESG_SG_NSC_INS5_IJiiEEESJ_Lb0EEESG_NS_23Merge_v2_magic_divisionISJ_EESM_NS_8RightPadIiiLb0EEESO_NS_7UnMergeISJ_Lb0EEESG_EEENS5_IJNS_8SequenceIJLi0EEEENSS_IJLi1EEEENSS_IJLi2EEEENSS_IJLi3EEEENSS_IJLi4EEEENSS_IJLi5EEEENSS_IJLi6EEEENSS_IJLi7ELi9EEEENSS_IJLi8ELi10EEEENSS_IJLi11EEEENSS_IJLi12EEEENSS_IJLi14EEEENSS_IJLi13EEEEEEENS5_IJNSS_IJLi1ELi2ELi3EEEESX_SY_SZ_NSS_IJLi7EEEENSS_IJLi8ELi9EEEENSS_IJLi10EEEES12_S13_S15_S14_NSS_IJLi15ELi16EEEENSS_IJLi17EEEEEEENSS_IJLi15ELi17ELi16EEEElEENSB_INS5_IJSQ_SO_SO_SQ_SG_EEENS5_IJST_SU_SV_SX_SW_EEENS5_IJNSS_IJLi1ELi2EEEESW_SX_NSS_IJLi5ELi6EEEES18_EEENSS_IJLi5ELi7ELi6EEEElEENSB_INS5_IJSK_SO_SO_EEENS5_IJST_SU_SV_EEENS5_IJS1I_SW_SX_EEENSS_IJLi3ELi4EEEElEELi128ELi128ELi16ELi2ELi4ELi4ELi1ENSS_IJLi8ELi2EEEES1S_NSS_IJLi8ELi1ELi1ELi2EEEENSS_IJLi2ELi1ELi128ELi1EEEENSS_IJLi1ELi2ELi0ELi3EEEES1V_NSS_IJLi4ELi1ELi1ELi2EEEES1V_NSS_IJLi1ELi1ELi1ELi2EEEES1T_S1U_S1V_S1V_S1W_S1V_S1X_NSS_IJLi0ELi1ELi2ELi3ELi4ELi5EEEELi5ELi4EEEDF16_NS5_IJPKDF16_EEEDF16_S8_S8_S9_NSB_INS5_IJSE_SG_SI_SG_SG_SK_SG_SM_SM_SO_SO_SQ_SG_SG_NSP_INS5_IJiNS_17integral_constantIiLi128EEEEEELb0EEENSF_INS23_IiLi2EEEEEEEENS5_IJST_SU_SV_SW_SX_SY_SZ_S10_S11_S12_S13_S14_S15_NSS_IJLi15EEEES1C_NSS_IJLi16EEEEEEENS5_IJS17_SX_SY_SZ_S18_S19_S1A_S12_S13_S15_S14_S1B_S1C_NSS_IJLi18EEEENSS_IJLi19ELi20EEEENSS_IJLi21EEEEEEENSS_IJLi18ELi19ELi20ELi21EEEElEENSB_INS5_IJSQ_SO_SO_SQ_SG_SG_S26_S28_EEENS5_IJST_SU_SV_SX_SW_SY_S18_SZ_EEENS5_IJS1I_SW_SX_S1J_S18_NSS_IJLi8EEEENSS_IJLi9ELi10EEEES12_EEENSS_IJLi8ELi9ELi10ELi11EEEElEENS5_IJNSB_INS5_IJSK_SO_SO_NSP_INS5_IJiS27_NS23_IiLi64EEEEEELb0EEES2S_EEENS5_IJST_SU_SV_SW_SX_EEENS5_IJS1I_SW_SX_NSS_IJLi5ELi6ELi7EEEENSS_IJLi8ELi9ELi10EEEEEEENSS_IJLi5ELi6ELi7ELi8ELi9ELi10EEEElEEEEES2Z_NS_31BlockToCTileMap_M00_N00_M01_N01ILi128ELi128ES1R_Lb0EEENS1_30ComputePtrOffsetOfStridedBatchILi1ELi1ELi1EvEELb0ELb1EEEvPKT0_S37_T1_PT2_T3_T4_T5_iT6_T7_T8_T9_T10_T11_.num_vgpr, 125
	.set _ZN2ck16tensor_operation6device12_GLOBAL__N_137kernel_grouped_conv_fwd_dl_multiple_dINS_32GridwiseGemmDlMultipleD_km_kn_mnILi256EDF16_fNS_5TupleIJDF16_EEEDF16_NS0_12element_wise11PassThroughES8_NS7_7AddReluELNS_25InMemoryDataOperationEnumE0ENS_16TensorDescriptorINS5_IJNS_5EmbedINS5_IJiiiEEESD_Lb0EEENS_11PassThroughIiEENS_3PadIiiiLb0EEESG_SG_NSC_INS5_IJiiEEESJ_Lb0EEESG_NS_23Merge_v2_magic_divisionISJ_EESM_NS_8RightPadIiiLb0EEESO_NS_7UnMergeISJ_Lb0EEESG_EEENS5_IJNS_8SequenceIJLi0EEEENSS_IJLi1EEEENSS_IJLi2EEEENSS_IJLi3EEEENSS_IJLi4EEEENSS_IJLi5EEEENSS_IJLi6EEEENSS_IJLi7ELi9EEEENSS_IJLi8ELi10EEEENSS_IJLi11EEEENSS_IJLi12EEEENSS_IJLi14EEEENSS_IJLi13EEEEEEENS5_IJNSS_IJLi1ELi2ELi3EEEESX_SY_SZ_NSS_IJLi7EEEENSS_IJLi8ELi9EEEENSS_IJLi10EEEES12_S13_S15_S14_NSS_IJLi15ELi16EEEENSS_IJLi17EEEEEEENSS_IJLi15ELi17ELi16EEEElEENSB_INS5_IJSQ_SO_SO_SQ_SG_EEENS5_IJST_SU_SV_SX_SW_EEENS5_IJNSS_IJLi1ELi2EEEESW_SX_NSS_IJLi5ELi6EEEES18_EEENSS_IJLi5ELi7ELi6EEEElEENSB_INS5_IJSK_SO_SO_EEENS5_IJST_SU_SV_EEENS5_IJS1I_SW_SX_EEENSS_IJLi3ELi4EEEElEELi128ELi128ELi16ELi2ELi4ELi4ELi1ENSS_IJLi8ELi2EEEES1S_NSS_IJLi8ELi1ELi1ELi2EEEENSS_IJLi2ELi1ELi128ELi1EEEENSS_IJLi1ELi2ELi0ELi3EEEES1V_NSS_IJLi4ELi1ELi1ELi2EEEES1V_NSS_IJLi1ELi1ELi1ELi2EEEES1T_S1U_S1V_S1V_S1W_S1V_S1X_NSS_IJLi0ELi1ELi2ELi3ELi4ELi5EEEELi5ELi4EEEDF16_NS5_IJPKDF16_EEEDF16_S8_S8_S9_NSB_INS5_IJSE_SG_SI_SG_SG_SK_SG_SM_SM_SO_SO_SQ_SG_SG_NSP_INS5_IJiNS_17integral_constantIiLi128EEEEEELb0EEENSF_INS23_IiLi2EEEEEEEENS5_IJST_SU_SV_SW_SX_SY_SZ_S10_S11_S12_S13_S14_S15_NSS_IJLi15EEEES1C_NSS_IJLi16EEEEEEENS5_IJS17_SX_SY_SZ_S18_S19_S1A_S12_S13_S15_S14_S1B_S1C_NSS_IJLi18EEEENSS_IJLi19ELi20EEEENSS_IJLi21EEEEEEENSS_IJLi18ELi19ELi20ELi21EEEElEENSB_INS5_IJSQ_SO_SO_SQ_SG_SG_S26_S28_EEENS5_IJST_SU_SV_SX_SW_SY_S18_SZ_EEENS5_IJS1I_SW_SX_S1J_S18_NSS_IJLi8EEEENSS_IJLi9ELi10EEEES12_EEENSS_IJLi8ELi9ELi10ELi11EEEElEENS5_IJNSB_INS5_IJSK_SO_SO_NSP_INS5_IJiS27_NS23_IiLi64EEEEEELb0EEES2S_EEENS5_IJST_SU_SV_SW_SX_EEENS5_IJS1I_SW_SX_NSS_IJLi5ELi6ELi7EEEENSS_IJLi8ELi9ELi10EEEEEEENSS_IJLi5ELi6ELi7ELi8ELi9ELi10EEEElEEEEES2Z_NS_31BlockToCTileMap_M00_N00_M01_N01ILi128ELi128ES1R_Lb0EEENS1_30ComputePtrOffsetOfStridedBatchILi1ELi1ELi1EvEELb0ELb1EEEvPKT0_S37_T1_PT2_T3_T4_T5_iT6_T7_T8_T9_T10_T11_.num_agpr, 0
	.set _ZN2ck16tensor_operation6device12_GLOBAL__N_137kernel_grouped_conv_fwd_dl_multiple_dINS_32GridwiseGemmDlMultipleD_km_kn_mnILi256EDF16_fNS_5TupleIJDF16_EEEDF16_NS0_12element_wise11PassThroughES8_NS7_7AddReluELNS_25InMemoryDataOperationEnumE0ENS_16TensorDescriptorINS5_IJNS_5EmbedINS5_IJiiiEEESD_Lb0EEENS_11PassThroughIiEENS_3PadIiiiLb0EEESG_SG_NSC_INS5_IJiiEEESJ_Lb0EEESG_NS_23Merge_v2_magic_divisionISJ_EESM_NS_8RightPadIiiLb0EEESO_NS_7UnMergeISJ_Lb0EEESG_EEENS5_IJNS_8SequenceIJLi0EEEENSS_IJLi1EEEENSS_IJLi2EEEENSS_IJLi3EEEENSS_IJLi4EEEENSS_IJLi5EEEENSS_IJLi6EEEENSS_IJLi7ELi9EEEENSS_IJLi8ELi10EEEENSS_IJLi11EEEENSS_IJLi12EEEENSS_IJLi14EEEENSS_IJLi13EEEEEEENS5_IJNSS_IJLi1ELi2ELi3EEEESX_SY_SZ_NSS_IJLi7EEEENSS_IJLi8ELi9EEEENSS_IJLi10EEEES12_S13_S15_S14_NSS_IJLi15ELi16EEEENSS_IJLi17EEEEEEENSS_IJLi15ELi17ELi16EEEElEENSB_INS5_IJSQ_SO_SO_SQ_SG_EEENS5_IJST_SU_SV_SX_SW_EEENS5_IJNSS_IJLi1ELi2EEEESW_SX_NSS_IJLi5ELi6EEEES18_EEENSS_IJLi5ELi7ELi6EEEElEENSB_INS5_IJSK_SO_SO_EEENS5_IJST_SU_SV_EEENS5_IJS1I_SW_SX_EEENSS_IJLi3ELi4EEEElEELi128ELi128ELi16ELi2ELi4ELi4ELi1ENSS_IJLi8ELi2EEEES1S_NSS_IJLi8ELi1ELi1ELi2EEEENSS_IJLi2ELi1ELi128ELi1EEEENSS_IJLi1ELi2ELi0ELi3EEEES1V_NSS_IJLi4ELi1ELi1ELi2EEEES1V_NSS_IJLi1ELi1ELi1ELi2EEEES1T_S1U_S1V_S1V_S1W_S1V_S1X_NSS_IJLi0ELi1ELi2ELi3ELi4ELi5EEEELi5ELi4EEEDF16_NS5_IJPKDF16_EEEDF16_S8_S8_S9_NSB_INS5_IJSE_SG_SI_SG_SG_SK_SG_SM_SM_SO_SO_SQ_SG_SG_NSP_INS5_IJiNS_17integral_constantIiLi128EEEEEELb0EEENSF_INS23_IiLi2EEEEEEEENS5_IJST_SU_SV_SW_SX_SY_SZ_S10_S11_S12_S13_S14_S15_NSS_IJLi15EEEES1C_NSS_IJLi16EEEEEEENS5_IJS17_SX_SY_SZ_S18_S19_S1A_S12_S13_S15_S14_S1B_S1C_NSS_IJLi18EEEENSS_IJLi19ELi20EEEENSS_IJLi21EEEEEEENSS_IJLi18ELi19ELi20ELi21EEEElEENSB_INS5_IJSQ_SO_SO_SQ_SG_SG_S26_S28_EEENS5_IJST_SU_SV_SX_SW_SY_S18_SZ_EEENS5_IJS1I_SW_SX_S1J_S18_NSS_IJLi8EEEENSS_IJLi9ELi10EEEES12_EEENSS_IJLi8ELi9ELi10ELi11EEEElEENS5_IJNSB_INS5_IJSK_SO_SO_NSP_INS5_IJiS27_NS23_IiLi64EEEEEELb0EEES2S_EEENS5_IJST_SU_SV_SW_SX_EEENS5_IJS1I_SW_SX_NSS_IJLi5ELi6ELi7EEEENSS_IJLi8ELi9ELi10EEEEEEENSS_IJLi5ELi6ELi7ELi8ELi9ELi10EEEElEEEEES2Z_NS_31BlockToCTileMap_M00_N00_M01_N01ILi128ELi128ES1R_Lb0EEENS1_30ComputePtrOffsetOfStridedBatchILi1ELi1ELi1EvEELb0ELb1EEEvPKT0_S37_T1_PT2_T3_T4_T5_iT6_T7_T8_T9_T10_T11_.numbered_sgpr, 60
	.set _ZN2ck16tensor_operation6device12_GLOBAL__N_137kernel_grouped_conv_fwd_dl_multiple_dINS_32GridwiseGemmDlMultipleD_km_kn_mnILi256EDF16_fNS_5TupleIJDF16_EEEDF16_NS0_12element_wise11PassThroughES8_NS7_7AddReluELNS_25InMemoryDataOperationEnumE0ENS_16TensorDescriptorINS5_IJNS_5EmbedINS5_IJiiiEEESD_Lb0EEENS_11PassThroughIiEENS_3PadIiiiLb0EEESG_SG_NSC_INS5_IJiiEEESJ_Lb0EEESG_NS_23Merge_v2_magic_divisionISJ_EESM_NS_8RightPadIiiLb0EEESO_NS_7UnMergeISJ_Lb0EEESG_EEENS5_IJNS_8SequenceIJLi0EEEENSS_IJLi1EEEENSS_IJLi2EEEENSS_IJLi3EEEENSS_IJLi4EEEENSS_IJLi5EEEENSS_IJLi6EEEENSS_IJLi7ELi9EEEENSS_IJLi8ELi10EEEENSS_IJLi11EEEENSS_IJLi12EEEENSS_IJLi14EEEENSS_IJLi13EEEEEEENS5_IJNSS_IJLi1ELi2ELi3EEEESX_SY_SZ_NSS_IJLi7EEEENSS_IJLi8ELi9EEEENSS_IJLi10EEEES12_S13_S15_S14_NSS_IJLi15ELi16EEEENSS_IJLi17EEEEEEENSS_IJLi15ELi17ELi16EEEElEENSB_INS5_IJSQ_SO_SO_SQ_SG_EEENS5_IJST_SU_SV_SX_SW_EEENS5_IJNSS_IJLi1ELi2EEEESW_SX_NSS_IJLi5ELi6EEEES18_EEENSS_IJLi5ELi7ELi6EEEElEENSB_INS5_IJSK_SO_SO_EEENS5_IJST_SU_SV_EEENS5_IJS1I_SW_SX_EEENSS_IJLi3ELi4EEEElEELi128ELi128ELi16ELi2ELi4ELi4ELi1ENSS_IJLi8ELi2EEEES1S_NSS_IJLi8ELi1ELi1ELi2EEEENSS_IJLi2ELi1ELi128ELi1EEEENSS_IJLi1ELi2ELi0ELi3EEEES1V_NSS_IJLi4ELi1ELi1ELi2EEEES1V_NSS_IJLi1ELi1ELi1ELi2EEEES1T_S1U_S1V_S1V_S1W_S1V_S1X_NSS_IJLi0ELi1ELi2ELi3ELi4ELi5EEEELi5ELi4EEEDF16_NS5_IJPKDF16_EEEDF16_S8_S8_S9_NSB_INS5_IJSE_SG_SI_SG_SG_SK_SG_SM_SM_SO_SO_SQ_SG_SG_NSP_INS5_IJiNS_17integral_constantIiLi128EEEEEELb0EEENSF_INS23_IiLi2EEEEEEEENS5_IJST_SU_SV_SW_SX_SY_SZ_S10_S11_S12_S13_S14_S15_NSS_IJLi15EEEES1C_NSS_IJLi16EEEEEEENS5_IJS17_SX_SY_SZ_S18_S19_S1A_S12_S13_S15_S14_S1B_S1C_NSS_IJLi18EEEENSS_IJLi19ELi20EEEENSS_IJLi21EEEEEEENSS_IJLi18ELi19ELi20ELi21EEEElEENSB_INS5_IJSQ_SO_SO_SQ_SG_SG_S26_S28_EEENS5_IJST_SU_SV_SX_SW_SY_S18_SZ_EEENS5_IJS1I_SW_SX_S1J_S18_NSS_IJLi8EEEENSS_IJLi9ELi10EEEES12_EEENSS_IJLi8ELi9ELi10ELi11EEEElEENS5_IJNSB_INS5_IJSK_SO_SO_NSP_INS5_IJiS27_NS23_IiLi64EEEEEELb0EEES2S_EEENS5_IJST_SU_SV_SW_SX_EEENS5_IJS1I_SW_SX_NSS_IJLi5ELi6ELi7EEEENSS_IJLi8ELi9ELi10EEEEEEENSS_IJLi5ELi6ELi7ELi8ELi9ELi10EEEElEEEEES2Z_NS_31BlockToCTileMap_M00_N00_M01_N01ILi128ELi128ES1R_Lb0EEENS1_30ComputePtrOffsetOfStridedBatchILi1ELi1ELi1EvEELb0ELb1EEEvPKT0_S37_T1_PT2_T3_T4_T5_iT6_T7_T8_T9_T10_T11_.num_named_barrier, 0
	.set _ZN2ck16tensor_operation6device12_GLOBAL__N_137kernel_grouped_conv_fwd_dl_multiple_dINS_32GridwiseGemmDlMultipleD_km_kn_mnILi256EDF16_fNS_5TupleIJDF16_EEEDF16_NS0_12element_wise11PassThroughES8_NS7_7AddReluELNS_25InMemoryDataOperationEnumE0ENS_16TensorDescriptorINS5_IJNS_5EmbedINS5_IJiiiEEESD_Lb0EEENS_11PassThroughIiEENS_3PadIiiiLb0EEESG_SG_NSC_INS5_IJiiEEESJ_Lb0EEESG_NS_23Merge_v2_magic_divisionISJ_EESM_NS_8RightPadIiiLb0EEESO_NS_7UnMergeISJ_Lb0EEESG_EEENS5_IJNS_8SequenceIJLi0EEEENSS_IJLi1EEEENSS_IJLi2EEEENSS_IJLi3EEEENSS_IJLi4EEEENSS_IJLi5EEEENSS_IJLi6EEEENSS_IJLi7ELi9EEEENSS_IJLi8ELi10EEEENSS_IJLi11EEEENSS_IJLi12EEEENSS_IJLi14EEEENSS_IJLi13EEEEEEENS5_IJNSS_IJLi1ELi2ELi3EEEESX_SY_SZ_NSS_IJLi7EEEENSS_IJLi8ELi9EEEENSS_IJLi10EEEES12_S13_S15_S14_NSS_IJLi15ELi16EEEENSS_IJLi17EEEEEEENSS_IJLi15ELi17ELi16EEEElEENSB_INS5_IJSQ_SO_SO_SQ_SG_EEENS5_IJST_SU_SV_SX_SW_EEENS5_IJNSS_IJLi1ELi2EEEESW_SX_NSS_IJLi5ELi6EEEES18_EEENSS_IJLi5ELi7ELi6EEEElEENSB_INS5_IJSK_SO_SO_EEENS5_IJST_SU_SV_EEENS5_IJS1I_SW_SX_EEENSS_IJLi3ELi4EEEElEELi128ELi128ELi16ELi2ELi4ELi4ELi1ENSS_IJLi8ELi2EEEES1S_NSS_IJLi8ELi1ELi1ELi2EEEENSS_IJLi2ELi1ELi128ELi1EEEENSS_IJLi1ELi2ELi0ELi3EEEES1V_NSS_IJLi4ELi1ELi1ELi2EEEES1V_NSS_IJLi1ELi1ELi1ELi2EEEES1T_S1U_S1V_S1V_S1W_S1V_S1X_NSS_IJLi0ELi1ELi2ELi3ELi4ELi5EEEELi5ELi4EEEDF16_NS5_IJPKDF16_EEEDF16_S8_S8_S9_NSB_INS5_IJSE_SG_SI_SG_SG_SK_SG_SM_SM_SO_SO_SQ_SG_SG_NSP_INS5_IJiNS_17integral_constantIiLi128EEEEEELb0EEENSF_INS23_IiLi2EEEEEEEENS5_IJST_SU_SV_SW_SX_SY_SZ_S10_S11_S12_S13_S14_S15_NSS_IJLi15EEEES1C_NSS_IJLi16EEEEEEENS5_IJS17_SX_SY_SZ_S18_S19_S1A_S12_S13_S15_S14_S1B_S1C_NSS_IJLi18EEEENSS_IJLi19ELi20EEEENSS_IJLi21EEEEEEENSS_IJLi18ELi19ELi20ELi21EEEElEENSB_INS5_IJSQ_SO_SO_SQ_SG_SG_S26_S28_EEENS5_IJST_SU_SV_SX_SW_SY_S18_SZ_EEENS5_IJS1I_SW_SX_S1J_S18_NSS_IJLi8EEEENSS_IJLi9ELi10EEEES12_EEENSS_IJLi8ELi9ELi10ELi11EEEElEENS5_IJNSB_INS5_IJSK_SO_SO_NSP_INS5_IJiS27_NS23_IiLi64EEEEEELb0EEES2S_EEENS5_IJST_SU_SV_SW_SX_EEENS5_IJS1I_SW_SX_NSS_IJLi5ELi6ELi7EEEENSS_IJLi8ELi9ELi10EEEEEEENSS_IJLi5ELi6ELi7ELi8ELi9ELi10EEEElEEEEES2Z_NS_31BlockToCTileMap_M00_N00_M01_N01ILi128ELi128ES1R_Lb0EEENS1_30ComputePtrOffsetOfStridedBatchILi1ELi1ELi1EvEELb0ELb1EEEvPKT0_S37_T1_PT2_T3_T4_T5_iT6_T7_T8_T9_T10_T11_.private_seg_size, 0
	.set _ZN2ck16tensor_operation6device12_GLOBAL__N_137kernel_grouped_conv_fwd_dl_multiple_dINS_32GridwiseGemmDlMultipleD_km_kn_mnILi256EDF16_fNS_5TupleIJDF16_EEEDF16_NS0_12element_wise11PassThroughES8_NS7_7AddReluELNS_25InMemoryDataOperationEnumE0ENS_16TensorDescriptorINS5_IJNS_5EmbedINS5_IJiiiEEESD_Lb0EEENS_11PassThroughIiEENS_3PadIiiiLb0EEESG_SG_NSC_INS5_IJiiEEESJ_Lb0EEESG_NS_23Merge_v2_magic_divisionISJ_EESM_NS_8RightPadIiiLb0EEESO_NS_7UnMergeISJ_Lb0EEESG_EEENS5_IJNS_8SequenceIJLi0EEEENSS_IJLi1EEEENSS_IJLi2EEEENSS_IJLi3EEEENSS_IJLi4EEEENSS_IJLi5EEEENSS_IJLi6EEEENSS_IJLi7ELi9EEEENSS_IJLi8ELi10EEEENSS_IJLi11EEEENSS_IJLi12EEEENSS_IJLi14EEEENSS_IJLi13EEEEEEENS5_IJNSS_IJLi1ELi2ELi3EEEESX_SY_SZ_NSS_IJLi7EEEENSS_IJLi8ELi9EEEENSS_IJLi10EEEES12_S13_S15_S14_NSS_IJLi15ELi16EEEENSS_IJLi17EEEEEEENSS_IJLi15ELi17ELi16EEEElEENSB_INS5_IJSQ_SO_SO_SQ_SG_EEENS5_IJST_SU_SV_SX_SW_EEENS5_IJNSS_IJLi1ELi2EEEESW_SX_NSS_IJLi5ELi6EEEES18_EEENSS_IJLi5ELi7ELi6EEEElEENSB_INS5_IJSK_SO_SO_EEENS5_IJST_SU_SV_EEENS5_IJS1I_SW_SX_EEENSS_IJLi3ELi4EEEElEELi128ELi128ELi16ELi2ELi4ELi4ELi1ENSS_IJLi8ELi2EEEES1S_NSS_IJLi8ELi1ELi1ELi2EEEENSS_IJLi2ELi1ELi128ELi1EEEENSS_IJLi1ELi2ELi0ELi3EEEES1V_NSS_IJLi4ELi1ELi1ELi2EEEES1V_NSS_IJLi1ELi1ELi1ELi2EEEES1T_S1U_S1V_S1V_S1W_S1V_S1X_NSS_IJLi0ELi1ELi2ELi3ELi4ELi5EEEELi5ELi4EEEDF16_NS5_IJPKDF16_EEEDF16_S8_S8_S9_NSB_INS5_IJSE_SG_SI_SG_SG_SK_SG_SM_SM_SO_SO_SQ_SG_SG_NSP_INS5_IJiNS_17integral_constantIiLi128EEEEEELb0EEENSF_INS23_IiLi2EEEEEEEENS5_IJST_SU_SV_SW_SX_SY_SZ_S10_S11_S12_S13_S14_S15_NSS_IJLi15EEEES1C_NSS_IJLi16EEEEEEENS5_IJS17_SX_SY_SZ_S18_S19_S1A_S12_S13_S15_S14_S1B_S1C_NSS_IJLi18EEEENSS_IJLi19ELi20EEEENSS_IJLi21EEEEEEENSS_IJLi18ELi19ELi20ELi21EEEElEENSB_INS5_IJSQ_SO_SO_SQ_SG_SG_S26_S28_EEENS5_IJST_SU_SV_SX_SW_SY_S18_SZ_EEENS5_IJS1I_SW_SX_S1J_S18_NSS_IJLi8EEEENSS_IJLi9ELi10EEEES12_EEENSS_IJLi8ELi9ELi10ELi11EEEElEENS5_IJNSB_INS5_IJSK_SO_SO_NSP_INS5_IJiS27_NS23_IiLi64EEEEEELb0EEES2S_EEENS5_IJST_SU_SV_SW_SX_EEENS5_IJS1I_SW_SX_NSS_IJLi5ELi6ELi7EEEENSS_IJLi8ELi9ELi10EEEEEEENSS_IJLi5ELi6ELi7ELi8ELi9ELi10EEEElEEEEES2Z_NS_31BlockToCTileMap_M00_N00_M01_N01ILi128ELi128ES1R_Lb0EEENS1_30ComputePtrOffsetOfStridedBatchILi1ELi1ELi1EvEELb0ELb1EEEvPKT0_S37_T1_PT2_T3_T4_T5_iT6_T7_T8_T9_T10_T11_.uses_vcc, 1
	.set _ZN2ck16tensor_operation6device12_GLOBAL__N_137kernel_grouped_conv_fwd_dl_multiple_dINS_32GridwiseGemmDlMultipleD_km_kn_mnILi256EDF16_fNS_5TupleIJDF16_EEEDF16_NS0_12element_wise11PassThroughES8_NS7_7AddReluELNS_25InMemoryDataOperationEnumE0ENS_16TensorDescriptorINS5_IJNS_5EmbedINS5_IJiiiEEESD_Lb0EEENS_11PassThroughIiEENS_3PadIiiiLb0EEESG_SG_NSC_INS5_IJiiEEESJ_Lb0EEESG_NS_23Merge_v2_magic_divisionISJ_EESM_NS_8RightPadIiiLb0EEESO_NS_7UnMergeISJ_Lb0EEESG_EEENS5_IJNS_8SequenceIJLi0EEEENSS_IJLi1EEEENSS_IJLi2EEEENSS_IJLi3EEEENSS_IJLi4EEEENSS_IJLi5EEEENSS_IJLi6EEEENSS_IJLi7ELi9EEEENSS_IJLi8ELi10EEEENSS_IJLi11EEEENSS_IJLi12EEEENSS_IJLi14EEEENSS_IJLi13EEEEEEENS5_IJNSS_IJLi1ELi2ELi3EEEESX_SY_SZ_NSS_IJLi7EEEENSS_IJLi8ELi9EEEENSS_IJLi10EEEES12_S13_S15_S14_NSS_IJLi15ELi16EEEENSS_IJLi17EEEEEEENSS_IJLi15ELi17ELi16EEEElEENSB_INS5_IJSQ_SO_SO_SQ_SG_EEENS5_IJST_SU_SV_SX_SW_EEENS5_IJNSS_IJLi1ELi2EEEESW_SX_NSS_IJLi5ELi6EEEES18_EEENSS_IJLi5ELi7ELi6EEEElEENSB_INS5_IJSK_SO_SO_EEENS5_IJST_SU_SV_EEENS5_IJS1I_SW_SX_EEENSS_IJLi3ELi4EEEElEELi128ELi128ELi16ELi2ELi4ELi4ELi1ENSS_IJLi8ELi2EEEES1S_NSS_IJLi8ELi1ELi1ELi2EEEENSS_IJLi2ELi1ELi128ELi1EEEENSS_IJLi1ELi2ELi0ELi3EEEES1V_NSS_IJLi4ELi1ELi1ELi2EEEES1V_NSS_IJLi1ELi1ELi1ELi2EEEES1T_S1U_S1V_S1V_S1W_S1V_S1X_NSS_IJLi0ELi1ELi2ELi3ELi4ELi5EEEELi5ELi4EEEDF16_NS5_IJPKDF16_EEEDF16_S8_S8_S9_NSB_INS5_IJSE_SG_SI_SG_SG_SK_SG_SM_SM_SO_SO_SQ_SG_SG_NSP_INS5_IJiNS_17integral_constantIiLi128EEEEEELb0EEENSF_INS23_IiLi2EEEEEEEENS5_IJST_SU_SV_SW_SX_SY_SZ_S10_S11_S12_S13_S14_S15_NSS_IJLi15EEEES1C_NSS_IJLi16EEEEEEENS5_IJS17_SX_SY_SZ_S18_S19_S1A_S12_S13_S15_S14_S1B_S1C_NSS_IJLi18EEEENSS_IJLi19ELi20EEEENSS_IJLi21EEEEEEENSS_IJLi18ELi19ELi20ELi21EEEElEENSB_INS5_IJSQ_SO_SO_SQ_SG_SG_S26_S28_EEENS5_IJST_SU_SV_SX_SW_SY_S18_SZ_EEENS5_IJS1I_SW_SX_S1J_S18_NSS_IJLi8EEEENSS_IJLi9ELi10EEEES12_EEENSS_IJLi8ELi9ELi10ELi11EEEElEENS5_IJNSB_INS5_IJSK_SO_SO_NSP_INS5_IJiS27_NS23_IiLi64EEEEEELb0EEES2S_EEENS5_IJST_SU_SV_SW_SX_EEENS5_IJS1I_SW_SX_NSS_IJLi5ELi6ELi7EEEENSS_IJLi8ELi9ELi10EEEEEEENSS_IJLi5ELi6ELi7ELi8ELi9ELi10EEEElEEEEES2Z_NS_31BlockToCTileMap_M00_N00_M01_N01ILi128ELi128ES1R_Lb0EEENS1_30ComputePtrOffsetOfStridedBatchILi1ELi1ELi1EvEELb0ELb1EEEvPKT0_S37_T1_PT2_T3_T4_T5_iT6_T7_T8_T9_T10_T11_.uses_flat_scratch, 0
	.set _ZN2ck16tensor_operation6device12_GLOBAL__N_137kernel_grouped_conv_fwd_dl_multiple_dINS_32GridwiseGemmDlMultipleD_km_kn_mnILi256EDF16_fNS_5TupleIJDF16_EEEDF16_NS0_12element_wise11PassThroughES8_NS7_7AddReluELNS_25InMemoryDataOperationEnumE0ENS_16TensorDescriptorINS5_IJNS_5EmbedINS5_IJiiiEEESD_Lb0EEENS_11PassThroughIiEENS_3PadIiiiLb0EEESG_SG_NSC_INS5_IJiiEEESJ_Lb0EEESG_NS_23Merge_v2_magic_divisionISJ_EESM_NS_8RightPadIiiLb0EEESO_NS_7UnMergeISJ_Lb0EEESG_EEENS5_IJNS_8SequenceIJLi0EEEENSS_IJLi1EEEENSS_IJLi2EEEENSS_IJLi3EEEENSS_IJLi4EEEENSS_IJLi5EEEENSS_IJLi6EEEENSS_IJLi7ELi9EEEENSS_IJLi8ELi10EEEENSS_IJLi11EEEENSS_IJLi12EEEENSS_IJLi14EEEENSS_IJLi13EEEEEEENS5_IJNSS_IJLi1ELi2ELi3EEEESX_SY_SZ_NSS_IJLi7EEEENSS_IJLi8ELi9EEEENSS_IJLi10EEEES12_S13_S15_S14_NSS_IJLi15ELi16EEEENSS_IJLi17EEEEEEENSS_IJLi15ELi17ELi16EEEElEENSB_INS5_IJSQ_SO_SO_SQ_SG_EEENS5_IJST_SU_SV_SX_SW_EEENS5_IJNSS_IJLi1ELi2EEEESW_SX_NSS_IJLi5ELi6EEEES18_EEENSS_IJLi5ELi7ELi6EEEElEENSB_INS5_IJSK_SO_SO_EEENS5_IJST_SU_SV_EEENS5_IJS1I_SW_SX_EEENSS_IJLi3ELi4EEEElEELi128ELi128ELi16ELi2ELi4ELi4ELi1ENSS_IJLi8ELi2EEEES1S_NSS_IJLi8ELi1ELi1ELi2EEEENSS_IJLi2ELi1ELi128ELi1EEEENSS_IJLi1ELi2ELi0ELi3EEEES1V_NSS_IJLi4ELi1ELi1ELi2EEEES1V_NSS_IJLi1ELi1ELi1ELi2EEEES1T_S1U_S1V_S1V_S1W_S1V_S1X_NSS_IJLi0ELi1ELi2ELi3ELi4ELi5EEEELi5ELi4EEEDF16_NS5_IJPKDF16_EEEDF16_S8_S8_S9_NSB_INS5_IJSE_SG_SI_SG_SG_SK_SG_SM_SM_SO_SO_SQ_SG_SG_NSP_INS5_IJiNS_17integral_constantIiLi128EEEEEELb0EEENSF_INS23_IiLi2EEEEEEEENS5_IJST_SU_SV_SW_SX_SY_SZ_S10_S11_S12_S13_S14_S15_NSS_IJLi15EEEES1C_NSS_IJLi16EEEEEEENS5_IJS17_SX_SY_SZ_S18_S19_S1A_S12_S13_S15_S14_S1B_S1C_NSS_IJLi18EEEENSS_IJLi19ELi20EEEENSS_IJLi21EEEEEEENSS_IJLi18ELi19ELi20ELi21EEEElEENSB_INS5_IJSQ_SO_SO_SQ_SG_SG_S26_S28_EEENS5_IJST_SU_SV_SX_SW_SY_S18_SZ_EEENS5_IJS1I_SW_SX_S1J_S18_NSS_IJLi8EEEENSS_IJLi9ELi10EEEES12_EEENSS_IJLi8ELi9ELi10ELi11EEEElEENS5_IJNSB_INS5_IJSK_SO_SO_NSP_INS5_IJiS27_NS23_IiLi64EEEEEELb0EEES2S_EEENS5_IJST_SU_SV_SW_SX_EEENS5_IJS1I_SW_SX_NSS_IJLi5ELi6ELi7EEEENSS_IJLi8ELi9ELi10EEEEEEENSS_IJLi5ELi6ELi7ELi8ELi9ELi10EEEElEEEEES2Z_NS_31BlockToCTileMap_M00_N00_M01_N01ILi128ELi128ES1R_Lb0EEENS1_30ComputePtrOffsetOfStridedBatchILi1ELi1ELi1EvEELb0ELb1EEEvPKT0_S37_T1_PT2_T3_T4_T5_iT6_T7_T8_T9_T10_T11_.has_dyn_sized_stack, 0
	.set _ZN2ck16tensor_operation6device12_GLOBAL__N_137kernel_grouped_conv_fwd_dl_multiple_dINS_32GridwiseGemmDlMultipleD_km_kn_mnILi256EDF16_fNS_5TupleIJDF16_EEEDF16_NS0_12element_wise11PassThroughES8_NS7_7AddReluELNS_25InMemoryDataOperationEnumE0ENS_16TensorDescriptorINS5_IJNS_5EmbedINS5_IJiiiEEESD_Lb0EEENS_11PassThroughIiEENS_3PadIiiiLb0EEESG_SG_NSC_INS5_IJiiEEESJ_Lb0EEESG_NS_23Merge_v2_magic_divisionISJ_EESM_NS_8RightPadIiiLb0EEESO_NS_7UnMergeISJ_Lb0EEESG_EEENS5_IJNS_8SequenceIJLi0EEEENSS_IJLi1EEEENSS_IJLi2EEEENSS_IJLi3EEEENSS_IJLi4EEEENSS_IJLi5EEEENSS_IJLi6EEEENSS_IJLi7ELi9EEEENSS_IJLi8ELi10EEEENSS_IJLi11EEEENSS_IJLi12EEEENSS_IJLi14EEEENSS_IJLi13EEEEEEENS5_IJNSS_IJLi1ELi2ELi3EEEESX_SY_SZ_NSS_IJLi7EEEENSS_IJLi8ELi9EEEENSS_IJLi10EEEES12_S13_S15_S14_NSS_IJLi15ELi16EEEENSS_IJLi17EEEEEEENSS_IJLi15ELi17ELi16EEEElEENSB_INS5_IJSQ_SO_SO_SQ_SG_EEENS5_IJST_SU_SV_SX_SW_EEENS5_IJNSS_IJLi1ELi2EEEESW_SX_NSS_IJLi5ELi6EEEES18_EEENSS_IJLi5ELi7ELi6EEEElEENSB_INS5_IJSK_SO_SO_EEENS5_IJST_SU_SV_EEENS5_IJS1I_SW_SX_EEENSS_IJLi3ELi4EEEElEELi128ELi128ELi16ELi2ELi4ELi4ELi1ENSS_IJLi8ELi2EEEES1S_NSS_IJLi8ELi1ELi1ELi2EEEENSS_IJLi2ELi1ELi128ELi1EEEENSS_IJLi1ELi2ELi0ELi3EEEES1V_NSS_IJLi4ELi1ELi1ELi2EEEES1V_NSS_IJLi1ELi1ELi1ELi2EEEES1T_S1U_S1V_S1V_S1W_S1V_S1X_NSS_IJLi0ELi1ELi2ELi3ELi4ELi5EEEELi5ELi4EEEDF16_NS5_IJPKDF16_EEEDF16_S8_S8_S9_NSB_INS5_IJSE_SG_SI_SG_SG_SK_SG_SM_SM_SO_SO_SQ_SG_SG_NSP_INS5_IJiNS_17integral_constantIiLi128EEEEEELb0EEENSF_INS23_IiLi2EEEEEEEENS5_IJST_SU_SV_SW_SX_SY_SZ_S10_S11_S12_S13_S14_S15_NSS_IJLi15EEEES1C_NSS_IJLi16EEEEEEENS5_IJS17_SX_SY_SZ_S18_S19_S1A_S12_S13_S15_S14_S1B_S1C_NSS_IJLi18EEEENSS_IJLi19ELi20EEEENSS_IJLi21EEEEEEENSS_IJLi18ELi19ELi20ELi21EEEElEENSB_INS5_IJSQ_SO_SO_SQ_SG_SG_S26_S28_EEENS5_IJST_SU_SV_SX_SW_SY_S18_SZ_EEENS5_IJS1I_SW_SX_S1J_S18_NSS_IJLi8EEEENSS_IJLi9ELi10EEEES12_EEENSS_IJLi8ELi9ELi10ELi11EEEElEENS5_IJNSB_INS5_IJSK_SO_SO_NSP_INS5_IJiS27_NS23_IiLi64EEEEEELb0EEES2S_EEENS5_IJST_SU_SV_SW_SX_EEENS5_IJS1I_SW_SX_NSS_IJLi5ELi6ELi7EEEENSS_IJLi8ELi9ELi10EEEEEEENSS_IJLi5ELi6ELi7ELi8ELi9ELi10EEEElEEEEES2Z_NS_31BlockToCTileMap_M00_N00_M01_N01ILi128ELi128ES1R_Lb0EEENS1_30ComputePtrOffsetOfStridedBatchILi1ELi1ELi1EvEELb0ELb1EEEvPKT0_S37_T1_PT2_T3_T4_T5_iT6_T7_T8_T9_T10_T11_.has_recursion, 0
	.set _ZN2ck16tensor_operation6device12_GLOBAL__N_137kernel_grouped_conv_fwd_dl_multiple_dINS_32GridwiseGemmDlMultipleD_km_kn_mnILi256EDF16_fNS_5TupleIJDF16_EEEDF16_NS0_12element_wise11PassThroughES8_NS7_7AddReluELNS_25InMemoryDataOperationEnumE0ENS_16TensorDescriptorINS5_IJNS_5EmbedINS5_IJiiiEEESD_Lb0EEENS_11PassThroughIiEENS_3PadIiiiLb0EEESG_SG_NSC_INS5_IJiiEEESJ_Lb0EEESG_NS_23Merge_v2_magic_divisionISJ_EESM_NS_8RightPadIiiLb0EEESO_NS_7UnMergeISJ_Lb0EEESG_EEENS5_IJNS_8SequenceIJLi0EEEENSS_IJLi1EEEENSS_IJLi2EEEENSS_IJLi3EEEENSS_IJLi4EEEENSS_IJLi5EEEENSS_IJLi6EEEENSS_IJLi7ELi9EEEENSS_IJLi8ELi10EEEENSS_IJLi11EEEENSS_IJLi12EEEENSS_IJLi14EEEENSS_IJLi13EEEEEEENS5_IJNSS_IJLi1ELi2ELi3EEEESX_SY_SZ_NSS_IJLi7EEEENSS_IJLi8ELi9EEEENSS_IJLi10EEEES12_S13_S15_S14_NSS_IJLi15ELi16EEEENSS_IJLi17EEEEEEENSS_IJLi15ELi17ELi16EEEElEENSB_INS5_IJSQ_SO_SO_SQ_SG_EEENS5_IJST_SU_SV_SX_SW_EEENS5_IJNSS_IJLi1ELi2EEEESW_SX_NSS_IJLi5ELi6EEEES18_EEENSS_IJLi5ELi7ELi6EEEElEENSB_INS5_IJSK_SO_SO_EEENS5_IJST_SU_SV_EEENS5_IJS1I_SW_SX_EEENSS_IJLi3ELi4EEEElEELi128ELi128ELi16ELi2ELi4ELi4ELi1ENSS_IJLi8ELi2EEEES1S_NSS_IJLi8ELi1ELi1ELi2EEEENSS_IJLi2ELi1ELi128ELi1EEEENSS_IJLi1ELi2ELi0ELi3EEEES1V_NSS_IJLi4ELi1ELi1ELi2EEEES1V_NSS_IJLi1ELi1ELi1ELi2EEEES1T_S1U_S1V_S1V_S1W_S1V_S1X_NSS_IJLi0ELi1ELi2ELi3ELi4ELi5EEEELi5ELi4EEEDF16_NS5_IJPKDF16_EEEDF16_S8_S8_S9_NSB_INS5_IJSE_SG_SI_SG_SG_SK_SG_SM_SM_SO_SO_SQ_SG_SG_NSP_INS5_IJiNS_17integral_constantIiLi128EEEEEELb0EEENSF_INS23_IiLi2EEEEEEEENS5_IJST_SU_SV_SW_SX_SY_SZ_S10_S11_S12_S13_S14_S15_NSS_IJLi15EEEES1C_NSS_IJLi16EEEEEEENS5_IJS17_SX_SY_SZ_S18_S19_S1A_S12_S13_S15_S14_S1B_S1C_NSS_IJLi18EEEENSS_IJLi19ELi20EEEENSS_IJLi21EEEEEEENSS_IJLi18ELi19ELi20ELi21EEEElEENSB_INS5_IJSQ_SO_SO_SQ_SG_SG_S26_S28_EEENS5_IJST_SU_SV_SX_SW_SY_S18_SZ_EEENS5_IJS1I_SW_SX_S1J_S18_NSS_IJLi8EEEENSS_IJLi9ELi10EEEES12_EEENSS_IJLi8ELi9ELi10ELi11EEEElEENS5_IJNSB_INS5_IJSK_SO_SO_NSP_INS5_IJiS27_NS23_IiLi64EEEEEELb0EEES2S_EEENS5_IJST_SU_SV_SW_SX_EEENS5_IJS1I_SW_SX_NSS_IJLi5ELi6ELi7EEEENSS_IJLi8ELi9ELi10EEEEEEENSS_IJLi5ELi6ELi7ELi8ELi9ELi10EEEElEEEEES2Z_NS_31BlockToCTileMap_M00_N00_M01_N01ILi128ELi128ES1R_Lb0EEENS1_30ComputePtrOffsetOfStridedBatchILi1ELi1ELi1EvEELb0ELb1EEEvPKT0_S37_T1_PT2_T3_T4_T5_iT6_T7_T8_T9_T10_T11_.has_indirect_call, 0
	.section	.AMDGPU.csdata,"",@progbits
; Kernel info:
; codeLenInByte = 22580
; TotalNumSgprs: 64
; NumVgprs: 125
; ScratchSize: 0
; MemoryBound: 0
; FloatMode: 240
; IeeeMode: 1
; LDSByteSize: 32768 bytes/workgroup (compile time only)
; SGPRBlocks: 12
; VGPRBlocks: 31
; NumSGPRsForWavesPerEU: 102
; NumVGPRsForWavesPerEU: 125
; Occupancy: 2
; WaveLimiterHint : 0
; COMPUTE_PGM_RSRC2:SCRATCH_EN: 0
; COMPUTE_PGM_RSRC2:USER_SGPR: 6
; COMPUTE_PGM_RSRC2:TRAP_HANDLER: 0
; COMPUTE_PGM_RSRC2:TGID_X_EN: 1
; COMPUTE_PGM_RSRC2:TGID_Y_EN: 0
; COMPUTE_PGM_RSRC2:TGID_Z_EN: 0
; COMPUTE_PGM_RSRC2:TIDIG_COMP_CNT: 0
	.section	.text._ZN2ck16tensor_operation6device12_GLOBAL__N_137kernel_grouped_conv_fwd_dl_multiple_dINS_32GridwiseGemmDlMultipleD_km_kn_mnILi256EDF16_fNS_5TupleIJDF16_EEEDF16_NS0_12element_wise11PassThroughES8_NS7_7AddReluELNS_25InMemoryDataOperationEnumE0ENS_16TensorDescriptorINS5_IJNS_5EmbedINS5_IJiiiEEESD_Lb0EEENS_11PassThroughIiEENS_3PadIiiiLb0EEESG_SG_NSC_INS5_IJiiEEESJ_Lb0EEESG_NS_23Merge_v2_magic_divisionISJ_EESM_NS_8RightPadIiiLb0EEESO_NS_7UnMergeISJ_Lb0EEESG_EEENS5_IJNS_8SequenceIJLi0EEEENSS_IJLi1EEEENSS_IJLi2EEEENSS_IJLi3EEEENSS_IJLi4EEEENSS_IJLi5EEEENSS_IJLi6EEEENSS_IJLi7ELi9EEEENSS_IJLi8ELi10EEEENSS_IJLi11EEEENSS_IJLi12EEEENSS_IJLi14EEEENSS_IJLi13EEEEEEENS5_IJNSS_IJLi1ELi2ELi3EEEESX_SY_SZ_NSS_IJLi7EEEENSS_IJLi8ELi9EEEENSS_IJLi10EEEES12_S13_S15_S14_NSS_IJLi15ELi16EEEENSS_IJLi17EEEEEEENSS_IJLi15ELi17ELi16EEEElEENSB_INS5_IJSQ_SO_SO_SQ_SG_EEENS5_IJST_SU_SV_SX_SW_EEENS5_IJNSS_IJLi1ELi2EEEESW_SX_NSS_IJLi5ELi6EEEES18_EEENSS_IJLi5ELi7ELi6EEEElEENSB_INS5_IJSK_SO_SO_EEENS5_IJST_SU_SV_EEENS5_IJS1I_SW_SX_EEENSS_IJLi3ELi4EEEElEELi128ELi128ELi16ELi2ELi4ELi4ELi1ENSS_IJLi8ELi2EEEES1S_NSS_IJLi8ELi1ELi1ELi2EEEENSS_IJLi2ELi1ELi128ELi1EEEENSS_IJLi1ELi2ELi0ELi3EEEES1V_NSS_IJLi4ELi1ELi1ELi2EEEES1V_NSS_IJLi1ELi1ELi1ELi2EEEES1T_S1U_S1V_S1V_S1W_S1V_S1X_NSS_IJLi0ELi1ELi2ELi3ELi4ELi5EEEELi5ELi4EEEDF16_NS5_IJPKDF16_EEEDF16_S8_S8_S9_NSB_INS5_IJSE_SG_SI_SG_SG_SK_SG_SM_SM_SO_SO_SQ_SG_SG_NSP_INS5_IJiNS_17integral_constantIiLi128EEEEEELb0EEENSF_INS23_IiLi2EEEEEEEENS5_IJST_SU_SV_SW_SX_SY_SZ_S10_S11_S12_S13_S14_S15_NSS_IJLi15EEEES1C_NSS_IJLi16EEEEEEENS5_IJS17_SX_SY_SZ_S18_S19_S1A_S12_S13_S15_S14_S1B_S1C_NSS_IJLi18EEEENSS_IJLi19ELi20EEEENSS_IJLi21EEEEEEENSS_IJLi18ELi19ELi20ELi21EEEElEENSB_INS5_IJSQ_SO_SO_SQ_SG_SG_S26_S28_EEENS5_IJST_SU_SV_SX_SW_SY_S18_SZ_EEENS5_IJS1I_SW_SX_S1J_S18_NSS_IJLi8EEEENSS_IJLi9ELi10EEEES12_EEENSS_IJLi8ELi9ELi10ELi11EEEElEENS5_IJNSB_INS5_IJSK_SO_SO_NSP_INS5_IJiS27_NS23_IiLi64EEEEEELb0EEES2S_EEENS5_IJST_SU_SV_SW_SX_EEENS5_IJS1I_SW_SX_NSS_IJLi5ELi6ELi7EEEENSS_IJLi8ELi9ELi10EEEEEEENSS_IJLi5ELi6ELi7ELi8ELi9ELi10EEEElEEEEES2Z_NS_31BlockToCTileMap_M00_N00_M01_N01ILi128ELi128ES1R_Lb0EEENS1_30ComputePtrOffsetOfStridedBatchILi1ELi1ELi1EvEELb0ELb0EEEvPKT0_S37_T1_PT2_T3_T4_T5_iT6_T7_T8_T9_T10_T11_,"axG",@progbits,_ZN2ck16tensor_operation6device12_GLOBAL__N_137kernel_grouped_conv_fwd_dl_multiple_dINS_32GridwiseGemmDlMultipleD_km_kn_mnILi256EDF16_fNS_5TupleIJDF16_EEEDF16_NS0_12element_wise11PassThroughES8_NS7_7AddReluELNS_25InMemoryDataOperationEnumE0ENS_16TensorDescriptorINS5_IJNS_5EmbedINS5_IJiiiEEESD_Lb0EEENS_11PassThroughIiEENS_3PadIiiiLb0EEESG_SG_NSC_INS5_IJiiEEESJ_Lb0EEESG_NS_23Merge_v2_magic_divisionISJ_EESM_NS_8RightPadIiiLb0EEESO_NS_7UnMergeISJ_Lb0EEESG_EEENS5_IJNS_8SequenceIJLi0EEEENSS_IJLi1EEEENSS_IJLi2EEEENSS_IJLi3EEEENSS_IJLi4EEEENSS_IJLi5EEEENSS_IJLi6EEEENSS_IJLi7ELi9EEEENSS_IJLi8ELi10EEEENSS_IJLi11EEEENSS_IJLi12EEEENSS_IJLi14EEEENSS_IJLi13EEEEEEENS5_IJNSS_IJLi1ELi2ELi3EEEESX_SY_SZ_NSS_IJLi7EEEENSS_IJLi8ELi9EEEENSS_IJLi10EEEES12_S13_S15_S14_NSS_IJLi15ELi16EEEENSS_IJLi17EEEEEEENSS_IJLi15ELi17ELi16EEEElEENSB_INS5_IJSQ_SO_SO_SQ_SG_EEENS5_IJST_SU_SV_SX_SW_EEENS5_IJNSS_IJLi1ELi2EEEESW_SX_NSS_IJLi5ELi6EEEES18_EEENSS_IJLi5ELi7ELi6EEEElEENSB_INS5_IJSK_SO_SO_EEENS5_IJST_SU_SV_EEENS5_IJS1I_SW_SX_EEENSS_IJLi3ELi4EEEElEELi128ELi128ELi16ELi2ELi4ELi4ELi1ENSS_IJLi8ELi2EEEES1S_NSS_IJLi8ELi1ELi1ELi2EEEENSS_IJLi2ELi1ELi128ELi1EEEENSS_IJLi1ELi2ELi0ELi3EEEES1V_NSS_IJLi4ELi1ELi1ELi2EEEES1V_NSS_IJLi1ELi1ELi1ELi2EEEES1T_S1U_S1V_S1V_S1W_S1V_S1X_NSS_IJLi0ELi1ELi2ELi3ELi4ELi5EEEELi5ELi4EEEDF16_NS5_IJPKDF16_EEEDF16_S8_S8_S9_NSB_INS5_IJSE_SG_SI_SG_SG_SK_SG_SM_SM_SO_SO_SQ_SG_SG_NSP_INS5_IJiNS_17integral_constantIiLi128EEEEEELb0EEENSF_INS23_IiLi2EEEEEEEENS5_IJST_SU_SV_SW_SX_SY_SZ_S10_S11_S12_S13_S14_S15_NSS_IJLi15EEEES1C_NSS_IJLi16EEEEEEENS5_IJS17_SX_SY_SZ_S18_S19_S1A_S12_S13_S15_S14_S1B_S1C_NSS_IJLi18EEEENSS_IJLi19ELi20EEEENSS_IJLi21EEEEEEENSS_IJLi18ELi19ELi20ELi21EEEElEENSB_INS5_IJSQ_SO_SO_SQ_SG_SG_S26_S28_EEENS5_IJST_SU_SV_SX_SW_SY_S18_SZ_EEENS5_IJS1I_SW_SX_S1J_S18_NSS_IJLi8EEEENSS_IJLi9ELi10EEEES12_EEENSS_IJLi8ELi9ELi10ELi11EEEElEENS5_IJNSB_INS5_IJSK_SO_SO_NSP_INS5_IJiS27_NS23_IiLi64EEEEEELb0EEES2S_EEENS5_IJST_SU_SV_SW_SX_EEENS5_IJS1I_SW_SX_NSS_IJLi5ELi6ELi7EEEENSS_IJLi8ELi9ELi10EEEEEEENSS_IJLi5ELi6ELi7ELi8ELi9ELi10EEEElEEEEES2Z_NS_31BlockToCTileMap_M00_N00_M01_N01ILi128ELi128ES1R_Lb0EEENS1_30ComputePtrOffsetOfStridedBatchILi1ELi1ELi1EvEELb0ELb0EEEvPKT0_S37_T1_PT2_T3_T4_T5_iT6_T7_T8_T9_T10_T11_,comdat
	.globl	_ZN2ck16tensor_operation6device12_GLOBAL__N_137kernel_grouped_conv_fwd_dl_multiple_dINS_32GridwiseGemmDlMultipleD_km_kn_mnILi256EDF16_fNS_5TupleIJDF16_EEEDF16_NS0_12element_wise11PassThroughES8_NS7_7AddReluELNS_25InMemoryDataOperationEnumE0ENS_16TensorDescriptorINS5_IJNS_5EmbedINS5_IJiiiEEESD_Lb0EEENS_11PassThroughIiEENS_3PadIiiiLb0EEESG_SG_NSC_INS5_IJiiEEESJ_Lb0EEESG_NS_23Merge_v2_magic_divisionISJ_EESM_NS_8RightPadIiiLb0EEESO_NS_7UnMergeISJ_Lb0EEESG_EEENS5_IJNS_8SequenceIJLi0EEEENSS_IJLi1EEEENSS_IJLi2EEEENSS_IJLi3EEEENSS_IJLi4EEEENSS_IJLi5EEEENSS_IJLi6EEEENSS_IJLi7ELi9EEEENSS_IJLi8ELi10EEEENSS_IJLi11EEEENSS_IJLi12EEEENSS_IJLi14EEEENSS_IJLi13EEEEEEENS5_IJNSS_IJLi1ELi2ELi3EEEESX_SY_SZ_NSS_IJLi7EEEENSS_IJLi8ELi9EEEENSS_IJLi10EEEES12_S13_S15_S14_NSS_IJLi15ELi16EEEENSS_IJLi17EEEEEEENSS_IJLi15ELi17ELi16EEEElEENSB_INS5_IJSQ_SO_SO_SQ_SG_EEENS5_IJST_SU_SV_SX_SW_EEENS5_IJNSS_IJLi1ELi2EEEESW_SX_NSS_IJLi5ELi6EEEES18_EEENSS_IJLi5ELi7ELi6EEEElEENSB_INS5_IJSK_SO_SO_EEENS5_IJST_SU_SV_EEENS5_IJS1I_SW_SX_EEENSS_IJLi3ELi4EEEElEELi128ELi128ELi16ELi2ELi4ELi4ELi1ENSS_IJLi8ELi2EEEES1S_NSS_IJLi8ELi1ELi1ELi2EEEENSS_IJLi2ELi1ELi128ELi1EEEENSS_IJLi1ELi2ELi0ELi3EEEES1V_NSS_IJLi4ELi1ELi1ELi2EEEES1V_NSS_IJLi1ELi1ELi1ELi2EEEES1T_S1U_S1V_S1V_S1W_S1V_S1X_NSS_IJLi0ELi1ELi2ELi3ELi4ELi5EEEELi5ELi4EEEDF16_NS5_IJPKDF16_EEEDF16_S8_S8_S9_NSB_INS5_IJSE_SG_SI_SG_SG_SK_SG_SM_SM_SO_SO_SQ_SG_SG_NSP_INS5_IJiNS_17integral_constantIiLi128EEEEEELb0EEENSF_INS23_IiLi2EEEEEEEENS5_IJST_SU_SV_SW_SX_SY_SZ_S10_S11_S12_S13_S14_S15_NSS_IJLi15EEEES1C_NSS_IJLi16EEEEEEENS5_IJS17_SX_SY_SZ_S18_S19_S1A_S12_S13_S15_S14_S1B_S1C_NSS_IJLi18EEEENSS_IJLi19ELi20EEEENSS_IJLi21EEEEEEENSS_IJLi18ELi19ELi20ELi21EEEElEENSB_INS5_IJSQ_SO_SO_SQ_SG_SG_S26_S28_EEENS5_IJST_SU_SV_SX_SW_SY_S18_SZ_EEENS5_IJS1I_SW_SX_S1J_S18_NSS_IJLi8EEEENSS_IJLi9ELi10EEEES12_EEENSS_IJLi8ELi9ELi10ELi11EEEElEENS5_IJNSB_INS5_IJSK_SO_SO_NSP_INS5_IJiS27_NS23_IiLi64EEEEEELb0EEES2S_EEENS5_IJST_SU_SV_SW_SX_EEENS5_IJS1I_SW_SX_NSS_IJLi5ELi6ELi7EEEENSS_IJLi8ELi9ELi10EEEEEEENSS_IJLi5ELi6ELi7ELi8ELi9ELi10EEEElEEEEES2Z_NS_31BlockToCTileMap_M00_N00_M01_N01ILi128ELi128ES1R_Lb0EEENS1_30ComputePtrOffsetOfStridedBatchILi1ELi1ELi1EvEELb0ELb0EEEvPKT0_S37_T1_PT2_T3_T4_T5_iT6_T7_T8_T9_T10_T11_ ; -- Begin function _ZN2ck16tensor_operation6device12_GLOBAL__N_137kernel_grouped_conv_fwd_dl_multiple_dINS_32GridwiseGemmDlMultipleD_km_kn_mnILi256EDF16_fNS_5TupleIJDF16_EEEDF16_NS0_12element_wise11PassThroughES8_NS7_7AddReluELNS_25InMemoryDataOperationEnumE0ENS_16TensorDescriptorINS5_IJNS_5EmbedINS5_IJiiiEEESD_Lb0EEENS_11PassThroughIiEENS_3PadIiiiLb0EEESG_SG_NSC_INS5_IJiiEEESJ_Lb0EEESG_NS_23Merge_v2_magic_divisionISJ_EESM_NS_8RightPadIiiLb0EEESO_NS_7UnMergeISJ_Lb0EEESG_EEENS5_IJNS_8SequenceIJLi0EEEENSS_IJLi1EEEENSS_IJLi2EEEENSS_IJLi3EEEENSS_IJLi4EEEENSS_IJLi5EEEENSS_IJLi6EEEENSS_IJLi7ELi9EEEENSS_IJLi8ELi10EEEENSS_IJLi11EEEENSS_IJLi12EEEENSS_IJLi14EEEENSS_IJLi13EEEEEEENS5_IJNSS_IJLi1ELi2ELi3EEEESX_SY_SZ_NSS_IJLi7EEEENSS_IJLi8ELi9EEEENSS_IJLi10EEEES12_S13_S15_S14_NSS_IJLi15ELi16EEEENSS_IJLi17EEEEEEENSS_IJLi15ELi17ELi16EEEElEENSB_INS5_IJSQ_SO_SO_SQ_SG_EEENS5_IJST_SU_SV_SX_SW_EEENS5_IJNSS_IJLi1ELi2EEEESW_SX_NSS_IJLi5ELi6EEEES18_EEENSS_IJLi5ELi7ELi6EEEElEENSB_INS5_IJSK_SO_SO_EEENS5_IJST_SU_SV_EEENS5_IJS1I_SW_SX_EEENSS_IJLi3ELi4EEEElEELi128ELi128ELi16ELi2ELi4ELi4ELi1ENSS_IJLi8ELi2EEEES1S_NSS_IJLi8ELi1ELi1ELi2EEEENSS_IJLi2ELi1ELi128ELi1EEEENSS_IJLi1ELi2ELi0ELi3EEEES1V_NSS_IJLi4ELi1ELi1ELi2EEEES1V_NSS_IJLi1ELi1ELi1ELi2EEEES1T_S1U_S1V_S1V_S1W_S1V_S1X_NSS_IJLi0ELi1ELi2ELi3ELi4ELi5EEEELi5ELi4EEEDF16_NS5_IJPKDF16_EEEDF16_S8_S8_S9_NSB_INS5_IJSE_SG_SI_SG_SG_SK_SG_SM_SM_SO_SO_SQ_SG_SG_NSP_INS5_IJiNS_17integral_constantIiLi128EEEEEELb0EEENSF_INS23_IiLi2EEEEEEEENS5_IJST_SU_SV_SW_SX_SY_SZ_S10_S11_S12_S13_S14_S15_NSS_IJLi15EEEES1C_NSS_IJLi16EEEEEEENS5_IJS17_SX_SY_SZ_S18_S19_S1A_S12_S13_S15_S14_S1B_S1C_NSS_IJLi18EEEENSS_IJLi19ELi20EEEENSS_IJLi21EEEEEEENSS_IJLi18ELi19ELi20ELi21EEEElEENSB_INS5_IJSQ_SO_SO_SQ_SG_SG_S26_S28_EEENS5_IJST_SU_SV_SX_SW_SY_S18_SZ_EEENS5_IJS1I_SW_SX_S1J_S18_NSS_IJLi8EEEENSS_IJLi9ELi10EEEES12_EEENSS_IJLi8ELi9ELi10ELi11EEEElEENS5_IJNSB_INS5_IJSK_SO_SO_NSP_INS5_IJiS27_NS23_IiLi64EEEEEELb0EEES2S_EEENS5_IJST_SU_SV_SW_SX_EEENS5_IJS1I_SW_SX_NSS_IJLi5ELi6ELi7EEEENSS_IJLi8ELi9ELi10EEEEEEENSS_IJLi5ELi6ELi7ELi8ELi9ELi10EEEElEEEEES2Z_NS_31BlockToCTileMap_M00_N00_M01_N01ILi128ELi128ES1R_Lb0EEENS1_30ComputePtrOffsetOfStridedBatchILi1ELi1ELi1EvEELb0ELb0EEEvPKT0_S37_T1_PT2_T3_T4_T5_iT6_T7_T8_T9_T10_T11_
	.p2align	8
	.type	_ZN2ck16tensor_operation6device12_GLOBAL__N_137kernel_grouped_conv_fwd_dl_multiple_dINS_32GridwiseGemmDlMultipleD_km_kn_mnILi256EDF16_fNS_5TupleIJDF16_EEEDF16_NS0_12element_wise11PassThroughES8_NS7_7AddReluELNS_25InMemoryDataOperationEnumE0ENS_16TensorDescriptorINS5_IJNS_5EmbedINS5_IJiiiEEESD_Lb0EEENS_11PassThroughIiEENS_3PadIiiiLb0EEESG_SG_NSC_INS5_IJiiEEESJ_Lb0EEESG_NS_23Merge_v2_magic_divisionISJ_EESM_NS_8RightPadIiiLb0EEESO_NS_7UnMergeISJ_Lb0EEESG_EEENS5_IJNS_8SequenceIJLi0EEEENSS_IJLi1EEEENSS_IJLi2EEEENSS_IJLi3EEEENSS_IJLi4EEEENSS_IJLi5EEEENSS_IJLi6EEEENSS_IJLi7ELi9EEEENSS_IJLi8ELi10EEEENSS_IJLi11EEEENSS_IJLi12EEEENSS_IJLi14EEEENSS_IJLi13EEEEEEENS5_IJNSS_IJLi1ELi2ELi3EEEESX_SY_SZ_NSS_IJLi7EEEENSS_IJLi8ELi9EEEENSS_IJLi10EEEES12_S13_S15_S14_NSS_IJLi15ELi16EEEENSS_IJLi17EEEEEEENSS_IJLi15ELi17ELi16EEEElEENSB_INS5_IJSQ_SO_SO_SQ_SG_EEENS5_IJST_SU_SV_SX_SW_EEENS5_IJNSS_IJLi1ELi2EEEESW_SX_NSS_IJLi5ELi6EEEES18_EEENSS_IJLi5ELi7ELi6EEEElEENSB_INS5_IJSK_SO_SO_EEENS5_IJST_SU_SV_EEENS5_IJS1I_SW_SX_EEENSS_IJLi3ELi4EEEElEELi128ELi128ELi16ELi2ELi4ELi4ELi1ENSS_IJLi8ELi2EEEES1S_NSS_IJLi8ELi1ELi1ELi2EEEENSS_IJLi2ELi1ELi128ELi1EEEENSS_IJLi1ELi2ELi0ELi3EEEES1V_NSS_IJLi4ELi1ELi1ELi2EEEES1V_NSS_IJLi1ELi1ELi1ELi2EEEES1T_S1U_S1V_S1V_S1W_S1V_S1X_NSS_IJLi0ELi1ELi2ELi3ELi4ELi5EEEELi5ELi4EEEDF16_NS5_IJPKDF16_EEEDF16_S8_S8_S9_NSB_INS5_IJSE_SG_SI_SG_SG_SK_SG_SM_SM_SO_SO_SQ_SG_SG_NSP_INS5_IJiNS_17integral_constantIiLi128EEEEEELb0EEENSF_INS23_IiLi2EEEEEEEENS5_IJST_SU_SV_SW_SX_SY_SZ_S10_S11_S12_S13_S14_S15_NSS_IJLi15EEEES1C_NSS_IJLi16EEEEEEENS5_IJS17_SX_SY_SZ_S18_S19_S1A_S12_S13_S15_S14_S1B_S1C_NSS_IJLi18EEEENSS_IJLi19ELi20EEEENSS_IJLi21EEEEEEENSS_IJLi18ELi19ELi20ELi21EEEElEENSB_INS5_IJSQ_SO_SO_SQ_SG_SG_S26_S28_EEENS5_IJST_SU_SV_SX_SW_SY_S18_SZ_EEENS5_IJS1I_SW_SX_S1J_S18_NSS_IJLi8EEEENSS_IJLi9ELi10EEEES12_EEENSS_IJLi8ELi9ELi10ELi11EEEElEENS5_IJNSB_INS5_IJSK_SO_SO_NSP_INS5_IJiS27_NS23_IiLi64EEEEEELb0EEES2S_EEENS5_IJST_SU_SV_SW_SX_EEENS5_IJS1I_SW_SX_NSS_IJLi5ELi6ELi7EEEENSS_IJLi8ELi9ELi10EEEEEEENSS_IJLi5ELi6ELi7ELi8ELi9ELi10EEEElEEEEES2Z_NS_31BlockToCTileMap_M00_N00_M01_N01ILi128ELi128ES1R_Lb0EEENS1_30ComputePtrOffsetOfStridedBatchILi1ELi1ELi1EvEELb0ELb0EEEvPKT0_S37_T1_PT2_T3_T4_T5_iT6_T7_T8_T9_T10_T11_,@function
_ZN2ck16tensor_operation6device12_GLOBAL__N_137kernel_grouped_conv_fwd_dl_multiple_dINS_32GridwiseGemmDlMultipleD_km_kn_mnILi256EDF16_fNS_5TupleIJDF16_EEEDF16_NS0_12element_wise11PassThroughES8_NS7_7AddReluELNS_25InMemoryDataOperationEnumE0ENS_16TensorDescriptorINS5_IJNS_5EmbedINS5_IJiiiEEESD_Lb0EEENS_11PassThroughIiEENS_3PadIiiiLb0EEESG_SG_NSC_INS5_IJiiEEESJ_Lb0EEESG_NS_23Merge_v2_magic_divisionISJ_EESM_NS_8RightPadIiiLb0EEESO_NS_7UnMergeISJ_Lb0EEESG_EEENS5_IJNS_8SequenceIJLi0EEEENSS_IJLi1EEEENSS_IJLi2EEEENSS_IJLi3EEEENSS_IJLi4EEEENSS_IJLi5EEEENSS_IJLi6EEEENSS_IJLi7ELi9EEEENSS_IJLi8ELi10EEEENSS_IJLi11EEEENSS_IJLi12EEEENSS_IJLi14EEEENSS_IJLi13EEEEEEENS5_IJNSS_IJLi1ELi2ELi3EEEESX_SY_SZ_NSS_IJLi7EEEENSS_IJLi8ELi9EEEENSS_IJLi10EEEES12_S13_S15_S14_NSS_IJLi15ELi16EEEENSS_IJLi17EEEEEEENSS_IJLi15ELi17ELi16EEEElEENSB_INS5_IJSQ_SO_SO_SQ_SG_EEENS5_IJST_SU_SV_SX_SW_EEENS5_IJNSS_IJLi1ELi2EEEESW_SX_NSS_IJLi5ELi6EEEES18_EEENSS_IJLi5ELi7ELi6EEEElEENSB_INS5_IJSK_SO_SO_EEENS5_IJST_SU_SV_EEENS5_IJS1I_SW_SX_EEENSS_IJLi3ELi4EEEElEELi128ELi128ELi16ELi2ELi4ELi4ELi1ENSS_IJLi8ELi2EEEES1S_NSS_IJLi8ELi1ELi1ELi2EEEENSS_IJLi2ELi1ELi128ELi1EEEENSS_IJLi1ELi2ELi0ELi3EEEES1V_NSS_IJLi4ELi1ELi1ELi2EEEES1V_NSS_IJLi1ELi1ELi1ELi2EEEES1T_S1U_S1V_S1V_S1W_S1V_S1X_NSS_IJLi0ELi1ELi2ELi3ELi4ELi5EEEELi5ELi4EEEDF16_NS5_IJPKDF16_EEEDF16_S8_S8_S9_NSB_INS5_IJSE_SG_SI_SG_SG_SK_SG_SM_SM_SO_SO_SQ_SG_SG_NSP_INS5_IJiNS_17integral_constantIiLi128EEEEEELb0EEENSF_INS23_IiLi2EEEEEEEENS5_IJST_SU_SV_SW_SX_SY_SZ_S10_S11_S12_S13_S14_S15_NSS_IJLi15EEEES1C_NSS_IJLi16EEEEEEENS5_IJS17_SX_SY_SZ_S18_S19_S1A_S12_S13_S15_S14_S1B_S1C_NSS_IJLi18EEEENSS_IJLi19ELi20EEEENSS_IJLi21EEEEEEENSS_IJLi18ELi19ELi20ELi21EEEElEENSB_INS5_IJSQ_SO_SO_SQ_SG_SG_S26_S28_EEENS5_IJST_SU_SV_SX_SW_SY_S18_SZ_EEENS5_IJS1I_SW_SX_S1J_S18_NSS_IJLi8EEEENSS_IJLi9ELi10EEEES12_EEENSS_IJLi8ELi9ELi10ELi11EEEElEENS5_IJNSB_INS5_IJSK_SO_SO_NSP_INS5_IJiS27_NS23_IiLi64EEEEEELb0EEES2S_EEENS5_IJST_SU_SV_SW_SX_EEENS5_IJS1I_SW_SX_NSS_IJLi5ELi6ELi7EEEENSS_IJLi8ELi9ELi10EEEEEEENSS_IJLi5ELi6ELi7ELi8ELi9ELi10EEEElEEEEES2Z_NS_31BlockToCTileMap_M00_N00_M01_N01ILi128ELi128ES1R_Lb0EEENS1_30ComputePtrOffsetOfStridedBatchILi1ELi1ELi1EvEELb0ELb0EEEvPKT0_S37_T1_PT2_T3_T4_T5_iT6_T7_T8_T9_T10_T11_: ; @_ZN2ck16tensor_operation6device12_GLOBAL__N_137kernel_grouped_conv_fwd_dl_multiple_dINS_32GridwiseGemmDlMultipleD_km_kn_mnILi256EDF16_fNS_5TupleIJDF16_EEEDF16_NS0_12element_wise11PassThroughES8_NS7_7AddReluELNS_25InMemoryDataOperationEnumE0ENS_16TensorDescriptorINS5_IJNS_5EmbedINS5_IJiiiEEESD_Lb0EEENS_11PassThroughIiEENS_3PadIiiiLb0EEESG_SG_NSC_INS5_IJiiEEESJ_Lb0EEESG_NS_23Merge_v2_magic_divisionISJ_EESM_NS_8RightPadIiiLb0EEESO_NS_7UnMergeISJ_Lb0EEESG_EEENS5_IJNS_8SequenceIJLi0EEEENSS_IJLi1EEEENSS_IJLi2EEEENSS_IJLi3EEEENSS_IJLi4EEEENSS_IJLi5EEEENSS_IJLi6EEEENSS_IJLi7ELi9EEEENSS_IJLi8ELi10EEEENSS_IJLi11EEEENSS_IJLi12EEEENSS_IJLi14EEEENSS_IJLi13EEEEEEENS5_IJNSS_IJLi1ELi2ELi3EEEESX_SY_SZ_NSS_IJLi7EEEENSS_IJLi8ELi9EEEENSS_IJLi10EEEES12_S13_S15_S14_NSS_IJLi15ELi16EEEENSS_IJLi17EEEEEEENSS_IJLi15ELi17ELi16EEEElEENSB_INS5_IJSQ_SO_SO_SQ_SG_EEENS5_IJST_SU_SV_SX_SW_EEENS5_IJNSS_IJLi1ELi2EEEESW_SX_NSS_IJLi5ELi6EEEES18_EEENSS_IJLi5ELi7ELi6EEEElEENSB_INS5_IJSK_SO_SO_EEENS5_IJST_SU_SV_EEENS5_IJS1I_SW_SX_EEENSS_IJLi3ELi4EEEElEELi128ELi128ELi16ELi2ELi4ELi4ELi1ENSS_IJLi8ELi2EEEES1S_NSS_IJLi8ELi1ELi1ELi2EEEENSS_IJLi2ELi1ELi128ELi1EEEENSS_IJLi1ELi2ELi0ELi3EEEES1V_NSS_IJLi4ELi1ELi1ELi2EEEES1V_NSS_IJLi1ELi1ELi1ELi2EEEES1T_S1U_S1V_S1V_S1W_S1V_S1X_NSS_IJLi0ELi1ELi2ELi3ELi4ELi5EEEELi5ELi4EEEDF16_NS5_IJPKDF16_EEEDF16_S8_S8_S9_NSB_INS5_IJSE_SG_SI_SG_SG_SK_SG_SM_SM_SO_SO_SQ_SG_SG_NSP_INS5_IJiNS_17integral_constantIiLi128EEEEEELb0EEENSF_INS23_IiLi2EEEEEEEENS5_IJST_SU_SV_SW_SX_SY_SZ_S10_S11_S12_S13_S14_S15_NSS_IJLi15EEEES1C_NSS_IJLi16EEEEEEENS5_IJS17_SX_SY_SZ_S18_S19_S1A_S12_S13_S15_S14_S1B_S1C_NSS_IJLi18EEEENSS_IJLi19ELi20EEEENSS_IJLi21EEEEEEENSS_IJLi18ELi19ELi20ELi21EEEElEENSB_INS5_IJSQ_SO_SO_SQ_SG_SG_S26_S28_EEENS5_IJST_SU_SV_SX_SW_SY_S18_SZ_EEENS5_IJS1I_SW_SX_S1J_S18_NSS_IJLi8EEEENSS_IJLi9ELi10EEEES12_EEENSS_IJLi8ELi9ELi10ELi11EEEElEENS5_IJNSB_INS5_IJSK_SO_SO_NSP_INS5_IJiS27_NS23_IiLi64EEEEEELb0EEES2S_EEENS5_IJST_SU_SV_SW_SX_EEENS5_IJS1I_SW_SX_NSS_IJLi5ELi6ELi7EEEENSS_IJLi8ELi9ELi10EEEEEEENSS_IJLi5ELi6ELi7ELi8ELi9ELi10EEEElEEEEES2Z_NS_31BlockToCTileMap_M00_N00_M01_N01ILi128ELi128ES1R_Lb0EEENS1_30ComputePtrOffsetOfStridedBatchILi1ELi1ELi1EvEELb0ELb0EEEvPKT0_S37_T1_PT2_T3_T4_T5_iT6_T7_T8_T9_T10_T11_
; %bb.0:
	s_load_dword s0, s[4:5], 0x24
	s_load_dwordx8 s[8:15], s[4:5], 0x0
	s_load_dword s45, s[4:5], 0x78
	s_load_dword s46, s[4:5], 0x80
	;; [unrolled: 1-line block ×14, first 2 shown]
	s_load_dwordx4 s[28:31], s[4:5], 0x220
	s_load_dwordx4 s[36:39], s[4:5], 0x234
	s_waitcnt lgkmcnt(0)
	s_abs_i32 s16, s0
	v_cvt_f32_u32_e32 v1, s16
	s_sub_i32 s18, 0, s16
	s_xor_b32 s0, s17, s0
	s_abs_i32 s17, s17
	v_rcp_iflag_f32_e32 v1, v1
	s_ashr_i32 s0, s0, 31
	v_lshrrev_b32_e32 v22, 1, v0
	v_lshlrev_b32_e32 v28, 1, v0
	v_mul_f32_e32 v1, 0x4f7ffffe, v1
	v_cvt_u32_f32_e32 v1, v1
	v_and_b32_e32 v29, 0x1f8, v28
	v_readfirstlane_b32 s19, v1
	s_mul_i32 s18, s18, s19
	s_mul_hi_u32 s18, s19, s18
	s_add_i32 s19, s19, s18
	s_mul_hi_u32 s18, s17, s19
	s_mul_i32 s19, s18, s16
	s_sub_i32 s17, s17, s19
	s_add_i32 s19, s18, 1
	s_sub_i32 s20, s17, s16
	s_cmp_ge_u32 s17, s16
	s_cselect_b32 s18, s19, s18
	s_cselect_b32 s17, s20, s17
	s_add_i32 s19, s18, 1
	s_cmp_ge_u32 s17, s16
	s_cselect_b32 s16, s19, s18
	s_xor_b32 s16, s16, s0
	s_sub_i32 s0, s16, s0
	s_abs_i32 s24, s0
	v_cvt_f32_u32_e32 v1, s24
	s_sub_i32 s48, 0, s24
	s_abs_i32 s25, s6
	s_xor_b32 s0, s6, s0
	v_rcp_iflag_f32_e32 v1, v1
	s_ashr_i32 s0, s0, 31
	s_load_dwordx4 s[40:43], s[4:5], 0x248
	s_load_dwordx8 s[16:23], s[4:5], 0x260
	v_mul_f32_e32 v1, 0x4f7ffffe, v1
	v_cvt_u32_f32_e32 v1, v1
	v_readfirstlane_b32 s49, v1
	s_mul_i32 s48, s48, s49
	s_mul_hi_u32 s48, s49, s48
	s_add_i32 s49, s49, s48
	s_mul_hi_u32 s48, s25, s49
	s_mul_i32 s49, s48, s24
	s_sub_i32 s25, s25, s49
	s_add_i32 s49, s48, 1
	s_sub_i32 s50, s25, s24
	s_cmp_ge_u32 s25, s24
	s_cselect_b32 s48, s49, s48
	s_cselect_b32 s25, s50, s25
	s_add_i32 s49, s48, 1
	s_cmp_ge_u32 s25, s24
	s_cselect_b32 s24, s49, s48
	s_xor_b32 s24, s24, s0
	s_sub_i32 s0, s24, s0
	s_ashr_i32 s24, s0, 31
	s_waitcnt lgkmcnt(0)
	s_mul_i32 s25, s16, s24
	s_mul_hi_u32 s48, s16, s0
	s_add_i32 s25, s48, s25
	s_mul_i32 s17, s17, s0
	s_add_i32 s17, s25, s17
	s_mul_i32 s25, s18, s24
	s_mul_hi_u32 s48, s18, s0
	s_add_i32 s25, s48, s25
	s_mul_i32 s19, s19, s0
	s_add_i32 s19, s25, s19
	;; [unrolled: 5-line block ×4, first 2 shown]
	s_mul_i32 s20, s20, s0
	s_lshl_b64 s[20:21], s[20:21], 1
	s_mul_i32 s16, s16, s0
	s_add_u32 s24, s12, s20
	s_addc_u32 s25, s13, s21
	s_lshl_b64 s[12:13], s[16:17], 1
	s_mul_i32 s18, s18, s0
	s_add_u32 s20, s8, s12
	s_addc_u32 s21, s9, s13
	;; [unrolled: 4-line block ×3, first 2 shown]
	s_lshl_b64 s[8:9], s[22:23], 1
	s_add_u32 s16, s14, s8
	s_mul_hi_u32 s8, s39, s6
	s_addc_u32 s17, s15, s9
	s_add_i32 s8, s6, s8
	s_lshr_b32 s22, s8, s43
	s_mul_hi_u32 s8, s22, s38
	s_add_i32 s8, s22, s8
	s_lshr_b32 s23, s8, s42
	s_mul_hi_u32 s9, s23, s37
	s_add_i32 s9, s23, s9
	s_mul_i32 s8, s23, s30
	s_lshr_b32 s30, s9, s41
	s_mul_hi_u32 s9, s30, s36
	s_add_i32 s9, s30, s9
	s_lshr_b32 s9, s9, s40
	s_mul_i32 s9, s9, s28
	s_sub_i32 s9, s30, s9
	v_lshlrev_b32_e32 v1, 3, v0
	s_sub_i32 s8, s22, s8
	s_mul_i32 s9, s9, s26
	v_and_b32_e32 v20, 8, v1
	s_add_i32 s8, s8, s9
	v_mul_lo_u32 v21, s35, v20
	s_lshl_b32 s26, s8, 7
	v_or_b32_e32 v23, s26, v22
	v_mul_hi_u32 v2, v23, s45
	v_mul_hi_u32 v1, v21, s27
	s_load_dword s28, s[4:5], 0x48
	s_load_dwordx2 s[36:37], s[4:5], 0x60
	s_load_dword s18, s[4:5], 0x70
	s_load_dwordx8 s[8:15], s[4:5], 0x34
	s_mul_i32 s22, s22, s31
	v_add_u32_e32 v2, v23, v2
	v_add_u32_e32 v1, v21, v1
	v_lshrrev_b32_e32 v2, s46, v2
	s_waitcnt lgkmcnt(0)
	v_mul_lo_u32 v3, v2, s18
	v_lshrrev_b32_e32 v6, s3, v1
	v_mul_lo_u32 v1, v6, s36
	v_mul_lo_u32 v4, v6, s2
	v_sub_u32_e32 v3, v23, v3
	s_mul_i32 s30, s30, s29
	v_mad_u64_u32 v[18:19], s[18:19], v3, s37, v[1:2]
	v_sub_u32_e32 v1, v21, v4
	v_mul_lo_u32 v2, v2, s8
	v_subrev_u32_e32 v3, s28, v18
	v_mul_lo_u32 v3, v3, s9
	v_mul_lo_u32 v4, v1, s10
	s_sub_i32 s6, s6, s22
	s_sub_i32 s8, s23, s30
	s_lshl_b32 s22, s44, 1
	v_add3_u32 v8, v2, v4, v3
	s_and_b32 s21, s21, 0xffff
	s_mov_b32 s23, 0x20000
	v_lshlrev_b32_e32 v2, 1, v8
	s_load_dword s37, s[4:5], 0x148
	s_load_dwordx2 s[18:19], s[4:5], 0x158
	s_load_dword s11, s[4:5], 0x164
	s_load_dword s13, s[4:5], 0x170
	;; [unrolled: 1-line block ×3, first 2 shown]
	buffer_load_dwordx4 v[2:5], v2, s[20:23], 0 offen
	v_lshl_add_u32 v24, s35, 2, v21
	v_mul_hi_u32 v7, v24, s27
	s_mul_i32 s8, s8, s47
	v_mul_lo_u32 v19, s7, v20
	s_add_i32 s6, s6, s8
	v_add_u32_e32 v7, v24, v7
	v_lshrrev_b32_e32 v7, s3, v7
	v_sub_u32_e32 v6, v7, v6
	v_mul_lo_u32 v25, v6, s36
	s_lshl_b32 s27, s6, 7
	v_or_b32_e32 v26, s27, v22
	s_lshl_b32 s8, s7, 2
	s_and_b32 s25, s25, 0xffff
	s_and_b32 s17, s17, 0xffff
	s_waitcnt vmcnt(0)
	v_mad_u64_u32 v[6:7], s[2:3], v7, s2, v[1:2]
	v_mul_lo_u32 v1, v25, s9
	v_mad_u64_u32 v[14:15], s[2:3], v26, s1, v[19:20]
	v_sub_u32_e32 v6, v24, v6
	v_mad_u64_u32 v[6:7], s[2:3], v6, s10, v[1:2]
	s_waitcnt lgkmcnt(0)
	s_lshl_b32 s2, s37, 1
	s_and_b32 s1, s48, 0xffff
	v_add_lshl_u32 v1, v6, v8, 1
	buffer_load_dwordx4 v[6:9], v1, s[20:23], 0 offen
	s_mov_b32 s3, s23
	v_lshlrev_b32_e32 v1, 1, v14
	buffer_load_dwordx4 v[10:13], v1, s[0:3], 0 offen
	v_add_lshl_u32 v1, v14, s8, 1
	buffer_load_dwordx4 v[14:17], v1, s[0:3], 0 offen
	s_load_dword s0, s[4:5], 0xa8
	s_load_dword s9, s[4:5], 0xb4
	s_sub_i32 s10, s12, s14
	v_cmp_gt_i32_e64 s[6:7], s10, v18
	v_cmp_le_i32_e64 s[2:3], s28, v18
	s_waitcnt lgkmcnt(0)
	v_cmp_gt_i32_e64 s[0:1], s0, v23
	v_cmp_gt_i32_e32 vcc, s9, v21
	s_and_b64 s[6:7], s[6:7], vcc
	s_and_b64 s[2:3], s[6:7], s[2:3]
	s_and_b64 vcc, s[0:1], s[2:3]
	v_add_u32_e32 v18, v18, v25
	v_cndmask_b32_e32 v5, 0, v5, vcc
	v_cndmask_b32_e32 v4, 0, v4, vcc
	;; [unrolled: 1-line block ×4, first 2 shown]
	v_cmp_gt_i32_e32 vcc, s9, v24
	v_cmp_gt_i32_e64 s[6:7], s10, v18
	v_cmp_le_i32_e64 s[2:3], s28, v18
	s_and_b64 s[6:7], s[6:7], vcc
	s_and_b64 s[2:3], s[6:7], s[2:3]
	s_and_b64 vcc, s[0:1], s[2:3]
	v_lshrrev_b32_e32 v1, 5, v0
	v_cmp_gt_i32_e64 s[0:1], s34, v26
	v_lshlrev_b32_e32 v27, 6, v1
	v_add_u32_e32 v18, s8, v19
	v_sub_u32_e32 v27, v29, v27
	v_lshlrev_b32_e32 v0, 2, v0
	v_lshlrev_b32_e32 v1, 3, v1
	v_and_or_b32 v0, v0, 4, v27
	v_and_or_b32 v1, v28, 4, v1
	s_lshl_b32 s12, s19, 6
	s_waitcnt vmcnt(2)
	v_cndmask_b32_e32 v9, 0, v9, vcc
	v_cndmask_b32_e32 v8, 0, v8, vcc
	;; [unrolled: 1-line block ×4, first 2 shown]
	v_cmp_gt_i32_e32 vcc, s33, v19
	s_and_b64 vcc, vcc, s[0:1]
	s_waitcnt vmcnt(1)
	v_cndmask_b32_e32 v13, 0, v13, vcc
	v_cndmask_b32_e32 v12, 0, v12, vcc
	;; [unrolled: 1-line block ×4, first 2 shown]
	v_cmp_gt_i32_e32 vcc, s33, v18
	v_lshlrev_b32_e32 v18, 2, v22
	s_and_b64 vcc, vcc, s[0:1]
	v_lshl_or_b32 v18, v20, 9, v18
	s_waitcnt vmcnt(0)
	v_cndmask_b32_e32 v17, 0, v17, vcc
	v_cndmask_b32_e32 v16, 0, v16, vcc
	;; [unrolled: 1-line block ×4, first 2 shown]
	ds_write2st64_b32 v18, v2, v3 offset1:2
	ds_write2st64_b32 v18, v4, v5 offset0:4 offset1:6
	ds_write2st64_b32 v18, v6, v7 offset0:8 offset1:10
	;; [unrolled: 1-line block ×7, first 2 shown]
	v_lshlrev_b32_e32 v2, 2, v1
	v_lshlrev_b32_e32 v3, 2, v0
	s_waitcnt lgkmcnt(0)
	s_barrier
	ds_read_b128 v[4:7], v2
	ds_read_b128 v[8:11], v3 offset:16384
	s_load_dwordx2 s[6:7], s[4:5], 0x1a8
	s_load_dword s8, s[4:5], 0x1b4
	s_load_dword s9, s[4:5], 0x1c0
	;; [unrolled: 1-line block ×3, first 2 shown]
	ds_read_b128 v[12:15], v3 offset:16640
	ds_read_b128 v[16:19], v2 offset:256
	s_waitcnt lgkmcnt(0)
	v_dot2_f32_f16 v20, v4, v8, 0
	v_dot2_f32_f16 v21, v4, v9, 0
	;; [unrolled: 1-line block ×32, first 2 shown]
	ds_read_b128 v[4:7], v2 offset:512
	v_dot2_f32_f16 v52, v16, v8, 0
	v_dot2_f32_f16 v53, v16, v9, 0
	;; [unrolled: 1-line block ×16, first 2 shown]
	ds_read_b128 v[8:11], v3 offset:16896
	v_dot2_f32_f16 v68, v16, v12, 0
	v_dot2_f32_f16 v69, v16, v13, 0
	;; [unrolled: 1-line block ×16, first 2 shown]
	ds_read_b128 v[12:15], v3 offset:17152
	ds_read_b128 v[16:19], v2 offset:768
	s_waitcnt lgkmcnt(2)
	v_dot2_f32_f16 v20, v4, v8, v20
	v_dot2_f32_f16 v21, v4, v9, v21
	;; [unrolled: 1-line block ×16, first 2 shown]
	s_waitcnt lgkmcnt(1)
	v_dot2_f32_f16 v36, v4, v12, v36
	v_dot2_f32_f16 v37, v4, v13, v37
	;; [unrolled: 1-line block ×16, first 2 shown]
	ds_read_b128 v[4:7], v2 offset:1024
	s_waitcnt lgkmcnt(1)
	v_dot2_f32_f16 v52, v16, v8, v52
	v_dot2_f32_f16 v53, v16, v9, v53
	;; [unrolled: 1-line block ×16, first 2 shown]
	ds_read_b128 v[8:11], v3 offset:17408
	v_dot2_f32_f16 v68, v16, v12, v68
	v_dot2_f32_f16 v69, v16, v13, v69
	;; [unrolled: 1-line block ×16, first 2 shown]
	ds_read_b128 v[12:15], v3 offset:17664
	ds_read_b128 v[16:19], v2 offset:1280
	s_waitcnt lgkmcnt(2)
	v_dot2_f32_f16 v20, v4, v8, v20
	v_dot2_f32_f16 v21, v4, v9, v21
	v_dot2_f32_f16 v22, v4, v10, v22
	v_dot2_f32_f16 v23, v4, v11, v23
	v_dot2_f32_f16 v24, v5, v8, v24
	v_dot2_f32_f16 v25, v5, v9, v25
	v_dot2_f32_f16 v26, v5, v10, v26
	v_dot2_f32_f16 v27, v5, v11, v27
	v_dot2_f32_f16 v28, v6, v8, v28
	v_dot2_f32_f16 v29, v6, v9, v29
	v_dot2_f32_f16 v30, v6, v10, v30
	v_dot2_f32_f16 v31, v6, v11, v31
	v_dot2_f32_f16 v32, v7, v8, v32
	v_dot2_f32_f16 v33, v7, v9, v33
	v_dot2_f32_f16 v34, v7, v10, v34
	v_dot2_f32_f16 v35, v7, v11, v35
	s_waitcnt lgkmcnt(1)
	v_dot2_f32_f16 v36, v4, v12, v36
	v_dot2_f32_f16 v37, v4, v13, v37
	;; [unrolled: 1-line block ×16, first 2 shown]
	ds_read_b128 v[4:7], v2 offset:1536
	s_waitcnt lgkmcnt(1)
	v_dot2_f32_f16 v52, v16, v8, v52
	v_dot2_f32_f16 v53, v16, v9, v53
	;; [unrolled: 1-line block ×16, first 2 shown]
	ds_read_b128 v[8:11], v3 offset:17920
	v_dot2_f32_f16 v68, v16, v12, v68
	v_dot2_f32_f16 v69, v16, v13, v69
	;; [unrolled: 1-line block ×16, first 2 shown]
	ds_read_b128 v[12:15], v3 offset:18176
	ds_read_b128 v[16:19], v2 offset:1792
	s_waitcnt lgkmcnt(2)
	v_dot2_f32_f16 v20, v4, v8, v20
	v_dot2_f32_f16 v21, v4, v9, v21
	;; [unrolled: 1-line block ×16, first 2 shown]
	s_waitcnt lgkmcnt(1)
	v_dot2_f32_f16 v36, v4, v12, v36
	v_dot2_f32_f16 v37, v4, v13, v37
	;; [unrolled: 1-line block ×16, first 2 shown]
	ds_read_b128 v[4:7], v2 offset:2048
	s_waitcnt lgkmcnt(1)
	v_dot2_f32_f16 v52, v16, v8, v52
	v_dot2_f32_f16 v53, v16, v9, v53
	;; [unrolled: 1-line block ×16, first 2 shown]
	ds_read_b128 v[8:11], v3 offset:18432
	v_dot2_f32_f16 v68, v16, v12, v68
	v_dot2_f32_f16 v69, v16, v13, v69
	;; [unrolled: 1-line block ×16, first 2 shown]
	ds_read_b128 v[12:15], v3 offset:18688
	ds_read_b128 v[16:19], v2 offset:2304
	s_waitcnt lgkmcnt(2)
	v_dot2_f32_f16 v20, v4, v8, v20
	v_dot2_f32_f16 v21, v4, v9, v21
	;; [unrolled: 1-line block ×16, first 2 shown]
	s_waitcnt lgkmcnt(1)
	v_dot2_f32_f16 v36, v4, v12, v36
	v_dot2_f32_f16 v37, v4, v13, v37
	;; [unrolled: 1-line block ×16, first 2 shown]
	ds_read_b128 v[4:7], v2 offset:2560
	s_waitcnt lgkmcnt(1)
	v_dot2_f32_f16 v52, v16, v8, v52
	v_dot2_f32_f16 v53, v16, v9, v53
	;; [unrolled: 1-line block ×16, first 2 shown]
	ds_read_b128 v[8:11], v3 offset:18944
	v_dot2_f32_f16 v68, v16, v12, v68
	v_dot2_f32_f16 v69, v16, v13, v69
	;; [unrolled: 1-line block ×16, first 2 shown]
	ds_read_b128 v[12:15], v3 offset:19200
	ds_read_b128 v[16:19], v2 offset:2816
	s_waitcnt lgkmcnt(2)
	v_dot2_f32_f16 v20, v4, v8, v20
	v_dot2_f32_f16 v21, v4, v9, v21
	;; [unrolled: 1-line block ×16, first 2 shown]
	s_waitcnt lgkmcnt(1)
	v_dot2_f32_f16 v36, v4, v12, v36
	v_dot2_f32_f16 v37, v4, v13, v37
	v_dot2_f32_f16 v38, v4, v14, v38
	v_dot2_f32_f16 v39, v4, v15, v39
	v_dot2_f32_f16 v40, v5, v12, v40
	v_dot2_f32_f16 v41, v5, v13, v41
	v_dot2_f32_f16 v42, v5, v14, v42
	v_dot2_f32_f16 v43, v5, v15, v43
	v_dot2_f32_f16 v44, v6, v12, v44
	v_dot2_f32_f16 v45, v6, v13, v45
	v_dot2_f32_f16 v46, v6, v14, v46
	v_dot2_f32_f16 v47, v6, v15, v47
	v_dot2_f32_f16 v48, v7, v12, v48
	v_dot2_f32_f16 v49, v7, v13, v49
	v_dot2_f32_f16 v50, v7, v14, v50
	v_dot2_f32_f16 v51, v7, v15, v51
	ds_read_b128 v[4:7], v2 offset:3072
	s_waitcnt lgkmcnt(1)
	v_dot2_f32_f16 v52, v16, v8, v52
	v_dot2_f32_f16 v53, v16, v9, v53
	;; [unrolled: 1-line block ×16, first 2 shown]
	ds_read_b128 v[8:11], v3 offset:19456
	v_dot2_f32_f16 v68, v16, v12, v68
	v_dot2_f32_f16 v69, v16, v13, v69
	;; [unrolled: 1-line block ×16, first 2 shown]
	ds_read_b128 v[12:15], v3 offset:19712
	ds_read_b128 v[16:19], v2 offset:3328
	s_waitcnt lgkmcnt(2)
	v_dot2_f32_f16 v20, v4, v8, v20
	v_dot2_f32_f16 v21, v4, v9, v21
	;; [unrolled: 1-line block ×16, first 2 shown]
	s_waitcnt lgkmcnt(1)
	v_dot2_f32_f16 v36, v4, v12, v36
	v_dot2_f32_f16 v37, v4, v13, v37
	;; [unrolled: 1-line block ×16, first 2 shown]
	ds_read_b128 v[4:7], v2 offset:3584
	s_waitcnt lgkmcnt(1)
	v_dot2_f32_f16 v52, v16, v8, v52
	v_dot2_f32_f16 v53, v16, v9, v53
	;; [unrolled: 1-line block ×16, first 2 shown]
	ds_read_b128 v[8:11], v3 offset:19968
	v_dot2_f32_f16 v68, v16, v12, v68
	v_dot2_f32_f16 v69, v16, v13, v69
	;; [unrolled: 1-line block ×16, first 2 shown]
	ds_read_b128 v[12:15], v3 offset:20224
	ds_read_b128 v[16:19], v2 offset:3840
	s_waitcnt lgkmcnt(2)
	v_dot2_f32_f16 v20, v4, v8, v20
	v_dot2_f32_f16 v21, v4, v9, v21
	;; [unrolled: 1-line block ×16, first 2 shown]
	s_waitcnt lgkmcnt(1)
	v_dot2_f32_f16 v36, v4, v12, v36
	v_dot2_f32_f16 v37, v4, v13, v37
	v_dot2_f32_f16 v38, v4, v14, v38
	v_dot2_f32_f16 v39, v4, v15, v39
	v_dot2_f32_f16 v40, v5, v12, v40
	v_dot2_f32_f16 v41, v5, v13, v41
	v_dot2_f32_f16 v42, v5, v14, v42
	v_dot2_f32_f16 v43, v5, v15, v43
	v_dot2_f32_f16 v44, v6, v12, v44
	v_dot2_f32_f16 v45, v6, v13, v45
	v_dot2_f32_f16 v46, v6, v14, v46
	v_dot2_f32_f16 v47, v6, v15, v47
	v_dot2_f32_f16 v48, v7, v12, v48
	v_dot2_f32_f16 v49, v7, v13, v49
	v_dot2_f32_f16 v50, v7, v14, v50
	v_dot2_f32_f16 v51, v7, v15, v51
	ds_read_b128 v[4:7], v2 offset:4096
	s_waitcnt lgkmcnt(1)
	v_dot2_f32_f16 v52, v16, v8, v52
	v_dot2_f32_f16 v53, v16, v9, v53
	v_dot2_f32_f16 v54, v16, v10, v54
	v_dot2_f32_f16 v55, v16, v11, v55
	v_dot2_f32_f16 v56, v17, v8, v56
	v_dot2_f32_f16 v57, v17, v9, v57
	v_dot2_f32_f16 v58, v17, v10, v58
	v_dot2_f32_f16 v59, v17, v11, v59
	v_dot2_f32_f16 v60, v18, v8, v60
	v_dot2_f32_f16 v61, v18, v9, v61
	v_dot2_f32_f16 v62, v18, v10, v62
	v_dot2_f32_f16 v63, v18, v11, v63
	v_dot2_f32_f16 v64, v19, v8, v64
	v_dot2_f32_f16 v65, v19, v9, v65
	v_dot2_f32_f16 v66, v19, v10, v66
	v_dot2_f32_f16 v67, v19, v11, v67
	ds_read_b128 v[8:11], v3 offset:20480
	v_dot2_f32_f16 v68, v16, v12, v68
	v_dot2_f32_f16 v69, v16, v13, v69
	;; [unrolled: 1-line block ×16, first 2 shown]
	ds_read_b128 v[12:15], v3 offset:20736
	ds_read_b128 v[16:19], v2 offset:4352
	s_waitcnt lgkmcnt(2)
	v_dot2_f32_f16 v20, v4, v8, v20
	v_dot2_f32_f16 v21, v4, v9, v21
	v_dot2_f32_f16 v22, v4, v10, v22
	v_dot2_f32_f16 v23, v4, v11, v23
	v_dot2_f32_f16 v24, v5, v8, v24
	v_dot2_f32_f16 v25, v5, v9, v25
	v_dot2_f32_f16 v26, v5, v10, v26
	v_dot2_f32_f16 v27, v5, v11, v27
	v_dot2_f32_f16 v28, v6, v8, v28
	v_dot2_f32_f16 v29, v6, v9, v29
	v_dot2_f32_f16 v30, v6, v10, v30
	v_dot2_f32_f16 v31, v6, v11, v31
	v_dot2_f32_f16 v32, v7, v8, v32
	v_dot2_f32_f16 v33, v7, v9, v33
	v_dot2_f32_f16 v34, v7, v10, v34
	v_dot2_f32_f16 v35, v7, v11, v35
	s_waitcnt lgkmcnt(1)
	v_dot2_f32_f16 v36, v4, v12, v36
	v_dot2_f32_f16 v37, v4, v13, v37
	;; [unrolled: 1-line block ×16, first 2 shown]
	ds_read_b128 v[4:7], v2 offset:4608
	s_waitcnt lgkmcnt(1)
	v_dot2_f32_f16 v52, v16, v8, v52
	v_dot2_f32_f16 v53, v16, v9, v53
	;; [unrolled: 1-line block ×16, first 2 shown]
	ds_read_b128 v[8:11], v3 offset:20992
	v_dot2_f32_f16 v68, v16, v12, v68
	v_dot2_f32_f16 v69, v16, v13, v69
	;; [unrolled: 1-line block ×16, first 2 shown]
	ds_read_b128 v[12:15], v3 offset:21248
	ds_read_b128 v[16:19], v2 offset:4864
	s_waitcnt lgkmcnt(2)
	v_dot2_f32_f16 v20, v4, v8, v20
	v_dot2_f32_f16 v21, v4, v9, v21
	;; [unrolled: 1-line block ×16, first 2 shown]
	s_waitcnt lgkmcnt(1)
	v_dot2_f32_f16 v36, v4, v12, v36
	v_dot2_f32_f16 v37, v4, v13, v37
	v_dot2_f32_f16 v38, v4, v14, v38
	v_dot2_f32_f16 v39, v4, v15, v39
	v_dot2_f32_f16 v40, v5, v12, v40
	v_dot2_f32_f16 v41, v5, v13, v41
	v_dot2_f32_f16 v42, v5, v14, v42
	v_dot2_f32_f16 v43, v5, v15, v43
	v_dot2_f32_f16 v44, v6, v12, v44
	v_dot2_f32_f16 v45, v6, v13, v45
	v_dot2_f32_f16 v46, v6, v14, v46
	v_dot2_f32_f16 v47, v6, v15, v47
	v_dot2_f32_f16 v48, v7, v12, v48
	v_dot2_f32_f16 v49, v7, v13, v49
	v_dot2_f32_f16 v50, v7, v14, v50
	v_dot2_f32_f16 v51, v7, v15, v51
	ds_read_b128 v[4:7], v2 offset:5120
	s_waitcnt lgkmcnt(1)
	v_dot2_f32_f16 v52, v16, v8, v52
	v_dot2_f32_f16 v53, v16, v9, v53
	;; [unrolled: 1-line block ×16, first 2 shown]
	ds_read_b128 v[8:11], v3 offset:21504
	v_dot2_f32_f16 v68, v16, v12, v68
	v_dot2_f32_f16 v69, v16, v13, v69
	;; [unrolled: 1-line block ×16, first 2 shown]
	ds_read_b128 v[12:15], v3 offset:21760
	ds_read_b128 v[16:19], v2 offset:5376
	s_waitcnt lgkmcnt(2)
	v_dot2_f32_f16 v20, v4, v8, v20
	v_dot2_f32_f16 v21, v4, v9, v21
	;; [unrolled: 1-line block ×16, first 2 shown]
	s_waitcnt lgkmcnt(1)
	v_dot2_f32_f16 v36, v4, v12, v36
	v_dot2_f32_f16 v37, v4, v13, v37
	;; [unrolled: 1-line block ×16, first 2 shown]
	ds_read_b128 v[4:7], v2 offset:5632
	s_waitcnt lgkmcnt(1)
	v_dot2_f32_f16 v52, v16, v8, v52
	v_dot2_f32_f16 v53, v16, v9, v53
	;; [unrolled: 1-line block ×16, first 2 shown]
	ds_read_b128 v[8:11], v3 offset:22016
	v_dot2_f32_f16 v68, v16, v12, v68
	v_dot2_f32_f16 v69, v16, v13, v69
	v_dot2_f32_f16 v70, v16, v14, v70
	v_dot2_f32_f16 v71, v16, v15, v71
	v_dot2_f32_f16 v72, v17, v12, v72
	v_dot2_f32_f16 v73, v17, v13, v73
	v_dot2_f32_f16 v74, v17, v14, v74
	v_dot2_f32_f16 v75, v17, v15, v75
	v_dot2_f32_f16 v76, v18, v12, v76
	v_dot2_f32_f16 v77, v18, v13, v77
	v_dot2_f32_f16 v78, v18, v14, v78
	v_dot2_f32_f16 v79, v18, v15, v79
	v_dot2_f32_f16 v80, v19, v12, v80
	v_dot2_f32_f16 v81, v19, v13, v81
	v_dot2_f32_f16 v82, v19, v14, v82
	v_dot2_f32_f16 v83, v19, v15, v83
	ds_read_b128 v[12:15], v3 offset:22272
	ds_read_b128 v[16:19], v2 offset:5888
	s_waitcnt lgkmcnt(2)
	v_dot2_f32_f16 v20, v4, v8, v20
	v_dot2_f32_f16 v21, v4, v9, v21
	;; [unrolled: 1-line block ×16, first 2 shown]
	s_waitcnt lgkmcnt(1)
	v_dot2_f32_f16 v36, v4, v12, v36
	v_dot2_f32_f16 v37, v4, v13, v37
	;; [unrolled: 1-line block ×16, first 2 shown]
	ds_read_b128 v[4:7], v2 offset:6144
	s_waitcnt lgkmcnt(1)
	v_dot2_f32_f16 v52, v16, v8, v52
	v_dot2_f32_f16 v53, v16, v9, v53
	;; [unrolled: 1-line block ×16, first 2 shown]
	ds_read_b128 v[8:11], v3 offset:22528
	v_dot2_f32_f16 v68, v16, v12, v68
	v_dot2_f32_f16 v69, v16, v13, v69
	;; [unrolled: 1-line block ×16, first 2 shown]
	ds_read_b128 v[12:15], v3 offset:22784
	ds_read_b128 v[16:19], v2 offset:6400
	s_waitcnt lgkmcnt(2)
	v_dot2_f32_f16 v20, v4, v8, v20
	v_dot2_f32_f16 v21, v4, v9, v21
	v_dot2_f32_f16 v22, v4, v10, v22
	v_dot2_f32_f16 v23, v4, v11, v23
	v_dot2_f32_f16 v24, v5, v8, v24
	v_dot2_f32_f16 v25, v5, v9, v25
	v_dot2_f32_f16 v26, v5, v10, v26
	v_dot2_f32_f16 v27, v5, v11, v27
	v_dot2_f32_f16 v28, v6, v8, v28
	v_dot2_f32_f16 v29, v6, v9, v29
	v_dot2_f32_f16 v30, v6, v10, v30
	v_dot2_f32_f16 v31, v6, v11, v31
	v_dot2_f32_f16 v32, v7, v8, v32
	v_dot2_f32_f16 v33, v7, v9, v33
	v_dot2_f32_f16 v34, v7, v10, v34
	v_dot2_f32_f16 v35, v7, v11, v35
	s_waitcnt lgkmcnt(1)
	v_dot2_f32_f16 v36, v4, v12, v36
	v_dot2_f32_f16 v37, v4, v13, v37
	;; [unrolled: 1-line block ×16, first 2 shown]
	ds_read_b128 v[4:7], v2 offset:6656
	s_waitcnt lgkmcnt(1)
	v_dot2_f32_f16 v52, v16, v8, v52
	v_dot2_f32_f16 v53, v16, v9, v53
	;; [unrolled: 1-line block ×16, first 2 shown]
	ds_read_b128 v[8:11], v3 offset:23040
	v_dot2_f32_f16 v68, v16, v12, v68
	v_dot2_f32_f16 v69, v16, v13, v69
	;; [unrolled: 1-line block ×16, first 2 shown]
	ds_read_b128 v[12:15], v3 offset:23296
	ds_read_b128 v[16:19], v2 offset:6912
	s_waitcnt lgkmcnt(2)
	v_dot2_f32_f16 v20, v4, v8, v20
	v_dot2_f32_f16 v21, v4, v9, v21
	;; [unrolled: 1-line block ×16, first 2 shown]
	s_waitcnt lgkmcnt(1)
	v_dot2_f32_f16 v36, v4, v12, v36
	v_dot2_f32_f16 v37, v4, v13, v37
	;; [unrolled: 1-line block ×16, first 2 shown]
	ds_read_b128 v[4:7], v2 offset:7168
	s_waitcnt lgkmcnt(1)
	v_dot2_f32_f16 v52, v16, v8, v52
	v_dot2_f32_f16 v53, v16, v9, v53
	v_dot2_f32_f16 v54, v16, v10, v54
	v_dot2_f32_f16 v55, v16, v11, v55
	v_dot2_f32_f16 v56, v17, v8, v56
	v_dot2_f32_f16 v57, v17, v9, v57
	v_dot2_f32_f16 v58, v17, v10, v58
	v_dot2_f32_f16 v59, v17, v11, v59
	v_dot2_f32_f16 v60, v18, v8, v60
	v_dot2_f32_f16 v61, v18, v9, v61
	v_dot2_f32_f16 v62, v18, v10, v62
	v_dot2_f32_f16 v63, v18, v11, v63
	v_dot2_f32_f16 v64, v19, v8, v64
	v_dot2_f32_f16 v65, v19, v9, v65
	v_dot2_f32_f16 v66, v19, v10, v66
	v_dot2_f32_f16 v67, v19, v11, v67
	ds_read_b128 v[8:11], v3 offset:23552
	v_dot2_f32_f16 v68, v16, v12, v68
	v_dot2_f32_f16 v69, v16, v13, v69
	;; [unrolled: 1-line block ×4, first 2 shown]
	s_waitcnt lgkmcnt(0)
	v_dot2_f32_f16 v84, v6, v11, v31
	v_or_b32_e32 v31, s26, v1
	v_dot2_f32_f16 v72, v17, v12, v72
	v_dot2_f32_f16 v73, v17, v13, v73
	;; [unrolled: 1-line block ×12, first 2 shown]
	ds_read_b128 v[12:15], v3 offset:23808
	ds_read_b128 v[16:19], v2 offset:7424
	v_mul_lo_u32 v1, v31, s18
	v_dot2_f32_f16 v85, v7, v10, v34
	v_add_u32_e32 v34, s27, v0
	v_dot2_f32_f16 v20, v4, v8, v20
	v_dot2_f32_f16 v21, v4, v9, v21
	;; [unrolled: 1-line block ×14, first 2 shown]
	s_waitcnt lgkmcnt(1)
	v_dot2_f32_f16 v86, v4, v12, v36
	v_dot2_f32_f16 v37, v4, v13, v37
	;; [unrolled: 1-line block ×16, first 2 shown]
	ds_read_b128 v[4:7], v2 offset:7680
	ds_read_b128 v[44:47], v3 offset:24064
	v_mad_u64_u32 v[0:1], s[0:1], v34, s19, v[1:2]
	s_lshl_b32 s26, s15, 1
	s_mov_b32 s27, s23
	v_lshlrev_b32_e32 v1, 1, v0
	s_waitcnt lgkmcnt(2)
	v_dot2_f32_f16 v95, v16, v8, v52
	v_dot2_f32_f16 v96, v16, v9, v53
	;; [unrolled: 1-line block ×8, first 2 shown]
	ds_read_b128 v[52:55], v3 offset:24320
	ds_read_b128 v[61:64], v2 offset:7936
	s_waitcnt lgkmcnt(2)
	v_dot2_f32_f16 v109, v4, v44, v20
	v_dot2_f32_f16 v110, v4, v45, v21
	buffer_load_dwordx2 v[20:21], v1, s[24:27], 0 offen
	v_dot2_f32_f16 v57, v17, v9, v57
	v_add_u32_e32 v2, s18, v0
	v_dot2_f32_f16 v111, v5, v44, v24
	v_dot2_f32_f16 v24, v5, v46, v26
	;; [unrolled: 1-line block ×3, first 2 shown]
	s_waitcnt lgkmcnt(1)
	v_dot2_f32_f16 v33, v5, v55, v43
	s_waitcnt lgkmcnt(0)
	v_dot2_f32_f16 v43, v62, v45, v57
	v_add_u32_e32 v57, s18, v2
	v_dot2_f32_f16 v68, v16, v12, v68
	v_dot2_f32_f16 v72, v17, v12, v72
	;; [unrolled: 1-line block ×4, first 2 shown]
	v_add_lshl_u32 v12, v57, s12, 1
	v_dot2_f32_f16 v58, v17, v10, v58
	v_dot2_f32_f16 v65, v19, v9, v65
	;; [unrolled: 1-line block ×9, first 2 shown]
	buffer_load_dwordx2 v[84:85], v12, s[24:27], 0 offen
	v_add_lshl_u32 v1, v0, s12, 1
	buffer_load_dwordx2 v[48:49], v1, s[24:27], 0 offen
	v_lshlrev_b32_e32 v0, 1, v2
	v_dot2_f32_f16 v103, v16, v14, v70
	v_dot2_f32_f16 v104, v16, v15, v71
	buffer_load_dwordx2 v[70:71], v0, s[24:27], 0 offen
	v_add_lshl_u32 v0, v2, s12, 1
	v_dot2_f32_f16 v105, v18, v13, v77
	v_dot2_f32_f16 v106, v18, v14, v78
	buffer_load_dwordx2 v[77:78], v0, s[24:27], 0 offen
	v_lshlrev_b32_e32 v2, 1, v57
	buffer_load_dwordx2 v[82:83], v2, s[24:27], 0 offen
	v_dot2_f32_f16 v60, v18, v8, v60
	v_dot2_f32_f16 v56, v17, v8, v56
	;; [unrolled: 1-line block ×17, first 2 shown]
	v_add_u32_e32 v45, s18, v57
	v_dot2_f32_f16 v41, v4, v47, v23
	v_dot2_f32_f16 v25, v5, v47, v27
	;; [unrolled: 1-line block ×11, first 2 shown]
	v_lshlrev_b32_e32 v47, 1, v45
	v_dot2_f32_f16 v114, v4, v52, v86
	buffer_load_dwordx2 v[86:87], v47, s[24:27], 0 offen
	v_dot2_f32_f16 v113, v6, v44, v28
	v_dot2_f32_f16 v115, v4, v53, v37
	;; [unrolled: 1-line block ×13, first 2 shown]
	v_add_lshl_u32 v53, v45, s12, 1
	v_dot2_f32_f16 v118, v6, v52, v89
	buffer_load_dwordx2 v[88:89], v53, s[24:27], 0 offen
	v_cmp_gt_i32_e32 vcc, s13, v34
	v_cmp_gt_i32_e64 s[2:3], s11, v31
	s_and_b64 s[0:1], s[2:3], vcc
	s_waitcnt vmcnt(7)
	v_cndmask_b32_e64 v73, 0, v21, s[0:1]
	v_cndmask_b32_e64 v21, 0, v20, s[0:1]
	v_cvt_f32_f16_e32 v47, v21
	v_dot2_f32_f16 v40, v4, v46, v22
	v_dot2_f32_f16 v38, v4, v54, v38
	;; [unrolled: 1-line block ×10, first 2 shown]
	v_cvt_f32_f16_sdwa v52, v21 dst_sel:DWORD dst_unused:UNUSED_PAD src0_sel:WORD_1
	v_add_f32_e32 v47, v109, v47
	v_dot2_f32_f16 v7, v62, v55, v75
	v_max_f32_e32 v75, 0, v47
	v_add_f32_e32 v47, v110, v52
	v_add_u32_e32 v52, 64, v34
	v_cmp_gt_i32_e64 s[0:1], s13, v52
	s_and_b64 s[2:3], s[2:3], s[0:1]
	v_dot2_f32_f16 v12, v63, v54, v106
	v_dot2_f32_f16 v13, v63, v55, v79
	s_waitcnt vmcnt(5)
	v_cndmask_b32_e64 v63, 0, v49, s[2:3]
	v_cndmask_b32_e64 v49, 0, v48, s[2:3]
	v_cvt_f32_f16_e32 v53, v49
	v_max_f32_e32 v80, 0, v47
	v_mad_u64_u32 v[47:48], s[2:3], s18, 61, v[45:46]
	v_add_f32_e32 v45, v114, v53
	v_dot2_f32_f16 v22, v6, v54, v91
	v_dot2_f32_f16 v23, v6, v55, v92
	;; [unrolled: 1-line block ×3, first 2 shown]
	v_cvt_f32_f16_sdwa v53, v49 dst_sel:DWORD dst_unused:UNUSED_PAD src0_sel:WORD_1
	v_max_f32_e32 v74, 0, v45
	v_lshlrev_b32_e32 v45, 1, v47
	buffer_load_dwordx2 v[48:49], v45, s[24:27], 0 offen
	v_or_b32_e32 v59, 1, v31
	v_cmp_gt_i32_e64 s[2:3], s11, v59
	s_and_b64 s[4:5], s[2:3], vcc
	v_add_lshl_u32 v57, v47, s12, 1
	buffer_load_dwordx2 v[90:91], v57, s[24:27], 0 offen
	v_add_f32_e32 v45, v115, v53
	s_waitcnt vmcnt(6)
	v_cndmask_b32_e64 v53, 0, v70, s[4:5]
	v_dot2_f32_f16 v3, v61, v55, v104
	v_dot2_f32_f16 v21, v64, v55, v108
	v_cvt_f32_f16_e32 v55, v53
	v_max_f32_e32 v81, 0, v45
	s_and_b64 s[2:3], s[2:3], s[0:1]
	v_add_u32_e32 v47, s18, v47
	v_add_f32_e32 v45, v111, v55
	v_max_f32_e32 v62, 0, v45
	v_cvt_f32_f16_sdwa v45, v53 dst_sel:DWORD dst_unused:UNUSED_PAD src0_sel:WORD_1
	s_waitcnt vmcnt(5)
	v_cndmask_b32_e64 v53, 0, v77, s[2:3]
	v_cvt_f32_f16_e32 v55, v53
	v_lshlrev_b32_e32 v57, 1, v47
	buffer_load_dwordx2 v[92:93], v57, s[24:27], 0 offen
	v_add_f32_e32 v45, v112, v45
	v_max_f32_e32 v72, 0, v45
	v_add_f32_e32 v45, v116, v55
	v_cvt_f32_f16_sdwa v53, v53 dst_sel:DWORD dst_unused:UNUSED_PAD src0_sel:WORD_1
	v_or_b32_e32 v55, 2, v31
	v_cndmask_b32_e64 v76, 0, v78, s[2:3]
	v_cmp_gt_i32_e64 s[2:3], s11, v55
	v_add_lshl_u32 v57, v47, s12, 1
	v_dot2_f32_f16 v2, v61, v54, v103
	v_dot2_f32_f16 v20, v64, v54, v107
	v_cndmask_b32_e64 v54, 0, v71, s[4:5]
	buffer_load_dwordx2 v[94:95], v57, s[24:27], 0 offen
	s_and_b64 s[4:5], s[2:3], vcc
	s_waitcnt vmcnt(6)
	v_cndmask_b32_e64 v57, 0, v82, s[4:5]
	v_max_f32_e32 v99, 0, v45
	v_add_f32_e32 v45, v117, v53
	v_cvt_f32_f16_sdwa v53, v57 dst_sel:DWORD dst_unused:UNUSED_PAD src0_sel:WORD_1
	v_cvt_f32_f16_e32 v61, v57
	v_add_u32_e32 v47, s18, v47
	v_max_f32_e32 v100, 0, v45
	v_add_f32_e32 v36, v36, v53
	v_add_f32_e32 v45, v113, v61
	v_lshlrev_b32_e32 v57, 1, v47
	s_and_b64 s[2:3], s[2:3], s[0:1]
	v_max_f32_e32 v79, 0, v36
	v_add_lshl_u32 v36, v47, s12, 1
	v_cndmask_b32_e64 v67, 0, v83, s[4:5]
	buffer_load_dwordx2 v[96:97], v57, s[24:27], 0 offen
	v_max_f32_e32 v78, 0, v45
	v_cndmask_b32_e64 v45, 0, v84, s[2:3]
	buffer_load_dwordx2 v[83:84], v36, s[24:27], 0 offen
	v_or_b32_e32 v57, 3, v31
	v_cndmask_b32_e64 v65, 0, v85, s[2:3]
	v_cmp_gt_i32_e64 s[2:3], s11, v57
	v_add_u32_e32 v47, s18, v47
	s_and_b64 s[4:5], s[2:3], vcc
	v_lshlrev_b32_e32 v70, 1, v47
	v_cvt_f32_f16_e32 v53, v45
	s_waitcnt vmcnt(7)
	v_cndmask_b32_e64 v61, 0, v86, s[4:5]
	buffer_load_dwordx2 v[85:86], v70, s[24:27], 0 offen
	v_cvt_f32_f16_sdwa v45, v45 dst_sel:DWORD dst_unused:UNUSED_PAD src0_sel:WORD_1
	v_add_f32_e32 v36, v118, v53
	s_and_b64 s[2:3], s[2:3], s[0:1]
	v_add_lshl_u32 v47, v47, s12, 1
	v_cndmask_b32_e64 v53, 0, v87, s[4:5]
	v_max_f32_e32 v82, 0, v36
	v_add_f32_e32 v36, v119, v45
	s_waitcnt vmcnt(7)
	v_cndmask_b32_e64 v45, 0, v88, s[2:3]
	buffer_load_dwordx2 v[87:88], v47, s[24:27], 0 offen
	v_max_f32_e32 v101, 0, v36
	v_cvt_f32_f16_sdwa v36, v61 dst_sel:DWORD dst_unused:UNUSED_PAD src0_sel:WORD_1
	v_cvt_f32_f16_e32 v47, v45
	v_cndmask_b32_e64 v77, 0, v89, s[2:3]
	v_cvt_f32_f16_e32 v64, v61
	v_add_f32_e32 v26, v26, v36
	v_max_f32_e32 v71, 0, v26
	v_or_b32_e32 v26, 64, v31
	v_cmp_gt_i32_e64 s[2:3], s11, v26
	s_and_b64 s[4:5], s[2:3], vcc
	v_cvt_f32_f16_sdwa v36, v45 dst_sel:DWORD dst_unused:UNUSED_PAD src0_sel:WORD_1
	s_waitcnt vmcnt(7)
	v_cndmask_b32_e64 v45, 0, v48, s[4:5]
	v_add_f32_e32 v35, v35, v47
	v_cvt_f32_f16_e32 v47, v45
	v_add_f32_e32 v28, v28, v36
	v_max_f32_e32 v102, 0, v28
	s_and_b64 s[2:3], s[2:3], s[0:1]
	v_add_f32_e32 v28, v29, v47
	v_cvt_f32_f16_sdwa v29, v45 dst_sel:DWORD dst_unused:UNUSED_PAD src0_sel:WORD_1
	v_add_f32_e32 v27, v27, v64
	v_max_f32_e32 v89, 0, v35
	s_waitcnt vmcnt(6)
	v_cndmask_b32_e64 v35, 0, v91, s[2:3]
	v_add_f32_e32 v29, v30, v29
	v_or_b32_e32 v30, 0x41, v31
	v_cndmask_b32_e64 v36, 0, v90, s[2:3]
	v_cmp_gt_i32_e64 s[2:3], s11, v30
	v_max_f32_e32 v70, 0, v27
	v_cndmask_b32_e64 v27, 0, v49, s[4:5]
	s_and_b64 s[4:5], s[2:3], vcc
	v_cvt_f32_f16_e32 v45, v36
	v_cvt_f32_f16_sdwa v48, v36 dst_sel:DWORD dst_unused:UNUSED_PAD src0_sel:WORD_1
	s_waitcnt vmcnt(5)
	v_cndmask_b32_e64 v49, 0, v92, s[4:5]
	v_cvt_f32_f16_e32 v61, v49
	s_and_b64 s[2:3], s[2:3], s[0:1]
	v_add_f32_e32 v47, v98, v45
	v_add_f32_e32 v37, v37, v48
	v_cvt_f32_f16_sdwa v48, v49 dst_sel:DWORD dst_unused:UNUSED_PAD src0_sel:WORD_1
	v_max_f32_e32 v36, 0, v47
	v_add_f32_e32 v47, v42, v61
	v_cndmask_b32_e64 v45, 0, v93, s[4:5]
	v_add_f32_e32 v43, v43, v48
	v_max_f32_e32 v48, 0, v43
	s_waitcnt vmcnt(4)
	v_cndmask_b32_e64 v49, 0, v94, s[2:3]
	v_cvt_f32_f16_e32 v61, v49
	v_cndmask_b32_e64 v42, 0, v95, s[2:3]
	s_lshl_b32 s18, s10, 1
	s_mov_b32 s19, s23
	v_add_f32_e32 v43, v46, v61
	v_cvt_f32_f16_sdwa v61, v49 dst_sel:DWORD dst_unused:UNUSED_PAD src0_sel:WORD_1
	v_or_b32_e32 v46, 0x42, v31
	v_cmp_gt_i32_e64 s[2:3], s11, v46
	s_and_b64 s[4:5], s[2:3], vcc
	s_and_b64 s[2:3], s[2:3], s[0:1]
	v_add_f32_e32 v44, v44, v61
	v_max_f32_e32 v47, 0, v47
	v_max_f32_e32 v43, 0, v43
	;; [unrolled: 1-line block ×4, first 2 shown]
	s_waitcnt vmcnt(3)
	v_cndmask_b32_e64 v64, 0, v96, s[4:5]
	v_cvt_f32_f16_e32 v90, v64
	v_cvt_f32_f16_sdwa v64, v64 dst_sel:DWORD dst_unused:UNUSED_PAD src0_sel:WORD_1
	s_waitcnt vmcnt(2)
	v_cndmask_b32_e64 v83, 0, v83, s[2:3]
	v_cndmask_b32_e64 v61, 0, v84, s[2:3]
	v_cvt_f32_f16_e32 v84, v83
	v_add_f32_e32 v51, v51, v64
	v_cvt_f32_f16_sdwa v83, v83 dst_sel:DWORD dst_unused:UNUSED_PAD src0_sel:WORD_1
	v_cndmask_b32_e64 v49, 0, v97, s[4:5]
	v_add_f32_e32 v64, v58, v84
	v_or_b32_e32 v58, 0x43, v31
	v_cmp_gt_i32_e64 s[2:3], s11, v58
	s_and_b64 vcc, s[2:3], vcc
	s_waitcnt vmcnt(1)
	v_cndmask_b32_e32 v85, 0, v85, vcc
	v_cndmask_b32_e32 v84, 0, v86, vcc
	v_cvt_f32_f16_e32 v86, v85
	v_cvt_f32_f16_sdwa v85, v85 dst_sel:DWORD dst_unused:UNUSED_PAD src0_sel:WORD_1
	s_and_b64 vcc, s[2:3], s[0:1]
	v_add_f32_e32 v66, v66, v83
	v_add_f32_e32 v56, v56, v86
	;; [unrolled: 1-line block ×3, first 2 shown]
	s_waitcnt vmcnt(0)
	v_cndmask_b32_e32 v86, 0, v87, vcc
	v_cvt_f32_f16_e32 v87, v86
	v_cvt_f32_f16_sdwa v85, v86 dst_sel:DWORD dst_unused:UNUSED_PAD src0_sel:WORD_1
	v_max_f32_e32 v86, 0, v60
	v_max_f32_e32 v83, 0, v56
	v_add_f32_e32 v60, v69, v87
	v_max_f32_e32 v87, 0, v60
	v_add_f32_e32 v60, v68, v85
	v_cvt_f32_f16_sdwa v68, v73 dst_sel:DWORD dst_unused:UNUSED_PAD src0_sel:WORD_1
	v_cvt_f32_f16_e32 v69, v73
	v_max_f32_e32 v85, 0, v60
	v_mul_lo_u32 v60, v31, s6
	v_add_f32_e32 v41, v41, v68
	v_add_f32_e32 v40, v40, v69
	v_max_f32_e32 v40, 0, v40
	v_max_f32_e32 v41, 0, v41
	v_cvt_f16_f32_e32 v73, v75
	v_cvt_f16_f32_e32 v75, v80
	;; [unrolled: 1-line block ×4, first 2 shown]
	v_mad_u64_u32 v[40:41], s[0:1], v34, s7, v[60:61]
	v_cndmask_b32_e32 v56, 0, v88, vcc
	v_cmp_gt_i32_e32 vcc, s9, v34
	v_cmp_gt_i32_e64 s[2:3], s8, v31
	v_bfrev_b32_e32 v31, 1
	s_and_b64 s[0:1], s[2:3], vcc
	v_cndmask_b32_e64 v34, v31, 0, s[0:1]
	v_pack_b32_f16 v68, v73, v75
	v_pack_b32_f16 v69, v80, v69
	v_lshl_add_u32 v34, v40, 1, v34
	buffer_store_dwordx2 v[68:69], v34, s[16:19], 0 offen
	v_cvt_f32_f16_sdwa v34, v63 dst_sel:DWORD dst_unused:UNUSED_PAD src0_sel:WORD_1
	v_cvt_f32_f16_e32 v41, v63
	v_cvt_f16_f32_e32 v60, v74
	v_cvt_f16_f32_e32 v63, v81
	v_add_f32_e32 v34, v39, v34
	v_add_f32_e32 v38, v38, v41
	v_max_f32_e32 v38, 0, v38
	v_max_f32_e32 v34, 0, v34
	v_cvt_f16_f32_e32 v34, v34
	v_cvt_f16_f32_e32 v39, v38
	v_pack_b32_f16 v38, v60, v63
	v_cmp_gt_i32_e64 s[0:1], s9, v52
	v_cvt_f32_f16_sdwa v52, v76 dst_sel:DWORD dst_unused:UNUSED_PAD src0_sel:WORD_1
	v_cvt_f32_f16_e32 v60, v76
	s_lshl_b32 s4, s7, 6
	s_and_b64 s[2:3], s[2:3], s[0:1]
	v_add_u32_e32 v41, s4, v40
	v_pack_b32_f16 v39, v39, v34
	v_cndmask_b32_e64 v34, v31, 0, s[2:3]
	v_lshl_add_u32 v34, v41, 1, v34
	v_add_f32_e32 v33, v33, v52
	v_add_f32_e32 v32, v32, v60
	buffer_store_dwordx2 v[38:39], v34, s[16:19], 0 offen
	v_add_u32_e32 v34, s6, v41
	v_cvt_f32_f16_sdwa v39, v54 dst_sel:DWORD dst_unused:UNUSED_PAD src0_sel:WORD_1
	v_cvt_f32_f16_e32 v41, v54
	v_max_f32_e32 v32, 0, v32
	v_max_f32_e32 v33, 0, v33
	v_cvt_f16_f32_e32 v33, v33
	v_cvt_f16_f32_e32 v52, v32
	;; [unrolled: 1-line block ×4, first 2 shown]
	v_add_f32_e32 v25, v25, v39
	v_add_f32_e32 v24, v24, v41
	v_cmp_gt_i32_e64 s[2:3], s8, v59
	v_max_f32_e32 v24, 0, v24
	v_max_f32_e32 v25, 0, v25
	v_pack_b32_f16 v33, v52, v33
	s_and_b64 s[10:11], s[2:3], s[0:1]
	v_cvt_f16_f32_e32 v52, v62
	v_cvt_f16_f32_e32 v54, v72
	v_cvt_f16_f32_e32 v25, v25
	v_cvt_f16_f32_e32 v39, v24
	v_cndmask_b32_e64 v38, v31, 0, s[10:11]
	v_pack_b32_f16 v32, v63, v68
	v_lshl_add_u32 v38, v34, 1, v38
	s_and_b64 s[2:3], s[2:3], vcc
	buffer_store_dwordx2 v[32:33], v38, s[16:19], 0 offen
	v_add_u32_e32 v32, s6, v40
	v_cndmask_b32_e64 v33, v31, 0, s[2:3]
	v_cmp_gt_i32_e64 s[2:3], s8, v55
	v_pack_b32_f16 v24, v52, v54
	v_pack_b32_f16 v25, v39, v25
	v_lshl_add_u32 v33, v32, 1, v33
	s_and_b64 s[10:11], s[2:3], vcc
	v_cvt_f32_f16_sdwa v38, v67 dst_sel:DWORD dst_unused:UNUSED_PAD src0_sel:WORD_1
	v_cvt_f32_f16_e32 v39, v67
	buffer_store_dwordx2 v[24:25], v33, s[16:19], 0 offen
	v_add_u32_e32 v24, s6, v32
	v_cndmask_b32_e64 v25, v31, 0, s[10:11]
	v_lshl_add_u32 v24, v24, 1, v25
	v_cvt_f32_f16_sdwa v25, v65 dst_sel:DWORD dst_unused:UNUSED_PAD src0_sel:WORD_1
	v_cvt_f32_f16_e32 v32, v65
	v_add_f32_e32 v19, v19, v38
	v_add_f32_e32 v18, v18, v39
	v_max_f32_e32 v18, 0, v18
	v_max_f32_e32 v19, 0, v19
	v_add_f32_e32 v23, v23, v25
	v_add_f32_e32 v22, v22, v32
	v_cvt_f16_f32_e32 v40, v78
	v_cvt_f16_f32_e32 v41, v79
	;; [unrolled: 1-line block ×4, first 2 shown]
	v_max_f32_e32 v22, 0, v22
	v_max_f32_e32 v23, 0, v23
	v_cvt_f16_f32_e32 v23, v23
	v_cvt_f16_f32_e32 v22, v22
	v_pack_b32_f16 v18, v40, v41
	v_pack_b32_f16 v19, v38, v19
	buffer_store_dwordx2 v[18:19], v24, s[16:19], 0 offen
	v_pack_b32_f16 v19, v22, v23
	v_cvt_f32_f16_sdwa v23, v77 dst_sel:DWORD dst_unused:UNUSED_PAD src0_sel:WORD_1
	v_cvt_f32_f16_e32 v25, v77
	v_cvt_f16_f32_e32 v33, v82
	v_cvt_f16_f32_e32 v38, v101
	v_add_f32_e32 v17, v17, v23
	v_add_f32_e32 v16, v16, v25
	v_max_f32_e32 v16, 0, v16
	v_max_f32_e32 v17, 0, v17
	v_cvt_f16_f32_e32 v17, v17
	v_cvt_f16_f32_e32 v23, v16
	s_and_b64 s[2:3], s[2:3], s[0:1]
	v_add_u32_e32 v24, s6, v34
	v_cndmask_b32_e64 v22, v31, 0, s[2:3]
	v_pack_b32_f16 v18, v33, v38
	v_lshl_add_u32 v22, v24, 1, v22
	buffer_store_dwordx2 v[18:19], v22, s[16:19], 0 offen
	v_pack_b32_f16 v17, v23, v17
	v_cvt_f32_f16_sdwa v22, v53 dst_sel:DWORD dst_unused:UNUSED_PAD src0_sel:WORD_1
	v_cvt_f32_f16_e32 v23, v53
	v_cvt_f16_f32_e32 v32, v89
	v_cvt_f16_f32_e32 v33, v102
	v_add_f32_e32 v11, v11, v22
	v_add_f32_e32 v10, v10, v23
	v_cmp_gt_i32_e64 s[2:3], s8, v57
	v_max_f32_e32 v10, 0, v10
	v_max_f32_e32 v11, 0, v11
	v_pack_b32_f16 v16, v32, v33
	s_and_b64 s[10:11], s[2:3], s[0:1]
	v_cvt_f16_f32_e32 v25, v70
	v_cvt_f16_f32_e32 v32, v71
	;; [unrolled: 1-line block ×4, first 2 shown]
	v_add_u32_e32 v18, s6, v24
	v_cndmask_b32_e64 v19, v31, 0, s[10:11]
	v_lshl_add_u32 v19, v18, 1, v19
	s_and_b64 s[2:3], s[2:3], vcc
	buffer_store_dwordx2 v[16:17], v19, s[16:19], 0 offen
	v_subrev_u32_e32 v16, s4, v18
	v_cndmask_b32_e64 v17, v31, 0, s[2:3]
	v_pack_b32_f16 v10, v25, v32
	v_pack_b32_f16 v11, v22, v11
	v_lshl_add_u32 v17, v16, 1, v17
	buffer_store_dwordx2 v[10:11], v17, s[16:19], 0 offen
	v_cvt_f32_f16_sdwa v10, v84 dst_sel:DWORD dst_unused:UNUSED_PAD src0_sel:WORD_1
	v_cvt_f32_f16_e32 v11, v84
	v_cmp_gt_i32_e64 s[2:3], s8, v58
	s_lshl_b32 s5, s6, 6
	v_add_f32_e32 v10, v15, v10
	v_add_f32_e32 v11, v14, v11
	v_max_f32_e32 v11, 0, v11
	v_max_f32_e32 v10, 0, v10
	v_cvt_f16_f32_e32 v14, v10
	v_cvt_f16_f32_e32 v11, v11
	s_and_b64 s[10:11], s[2:3], vcc
	v_add_u32_e32 v15, s5, v16
	v_cvt_f32_f16_e32 v16, v56
	v_pack_b32_f16 v11, v11, v14
	v_cndmask_b32_e64 v14, v31, 0, s[10:11]
	v_lshl_add_u32 v14, v15, 1, v14
	v_cvt_f32_f16_sdwa v15, v56 dst_sel:DWORD dst_unused:UNUSED_PAD src0_sel:WORD_1
	v_add_f32_e32 v16, v20, v16
	v_cvt_f16_f32_e32 v17, v83
	v_cvt_f16_f32_e32 v19, v86
	v_add_f32_e32 v15, v21, v15
	v_max_f32_e32 v16, 0, v16
	v_max_f32_e32 v15, 0, v15
	v_cvt_f16_f32_e32 v15, v15
	v_cvt_f16_f32_e32 v16, v16
	v_pack_b32_f16 v10, v17, v19
	s_and_b64 s[2:3], s[2:3], s[0:1]
	buffer_store_dwordx2 v[10:11], v14, s[16:19], 0 offen
	v_add_u32_e32 v14, s5, v18
	v_pack_b32_f16 v11, v16, v15
	v_cndmask_b32_e64 v15, v31, 0, s[2:3]
	v_lshl_add_u32 v14, v14, 1, v15
	v_cvt_f32_f16_sdwa v15, v61 dst_sel:DWORD dst_unused:UNUSED_PAD src0_sel:WORD_1
	v_cvt_f32_f16_e32 v16, v61
	v_cvt_f16_f32_e32 v17, v87
	v_cvt_f16_f32_e32 v19, v85
	v_add_f32_e32 v13, v13, v15
	v_add_f32_e32 v12, v12, v16
	v_max_f32_e32 v12, 0, v12
	v_max_f32_e32 v13, 0, v13
	v_cvt_f16_f32_e32 v13, v13
	v_cvt_f16_f32_e32 v12, v12
	v_pack_b32_f16 v10, v17, v19
	buffer_store_dwordx2 v[10:11], v14, s[16:19], 0 offen
	v_cvt_f32_f16_e32 v15, v49
	v_pack_b32_f16 v11, v12, v13
	v_cvt_f32_f16_sdwa v13, v49 dst_sel:DWORD dst_unused:UNUSED_PAD src0_sel:WORD_1
	v_max_f32_e32 v64, 0, v64
	v_max_f32_e32 v66, 0, v66
	v_cvt_f16_f32_e32 v17, v64
	v_cvt_f16_f32_e32 v18, v66
	v_add_f32_e32 v50, v50, v90
	v_add_f32_e32 v9, v9, v13
	;; [unrolled: 1-line block ×3, first 2 shown]
	v_max_f32_e32 v50, 0, v50
	v_max_f32_e32 v51, 0, v51
	v_cmp_ge_i32_e64 s[2:3], s8, v58
	v_max_f32_e32 v8, 0, v8
	v_max_f32_e32 v9, 0, v9
	v_pack_b32_f16 v10, v17, v18
	s_and_b64 s[2:3], s[2:3], s[0:1]
	v_cvt_f16_f32_e32 v16, v50
	v_cvt_f16_f32_e32 v17, v51
	;; [unrolled: 1-line block ×4, first 2 shown]
	v_add_u32_e32 v14, s5, v24
	v_cndmask_b32_e64 v12, v31, 0, s[2:3]
	v_cmp_gt_i32_e64 s[2:3], s8, v46
	v_lshl_add_u32 v12, v14, 1, v12
	s_and_b64 s[2:3], s[2:3], vcc
	buffer_store_dwordx2 v[10:11], v12, s[16:19], 0 offen
	v_subrev_u32_e32 v10, s4, v14
	v_cndmask_b32_e64 v11, v31, 0, s[2:3]
	v_pack_b32_f16 v8, v16, v17
	v_pack_b32_f16 v9, v13, v9
	v_lshl_add_u32 v11, v10, 1, v11
	v_cvt_f32_f16_sdwa v12, v45 dst_sel:DWORD dst_unused:UNUSED_PAD src0_sel:WORD_1
	v_cvt_f32_f16_e32 v13, v45
	buffer_store_dwordx2 v[8:9], v11, s[16:19], 0 offen
	v_subrev_u32_e32 v8, s6, v10
	v_cvt_f32_f16_sdwa v10, v42 dst_sel:DWORD dst_unused:UNUSED_PAD src0_sel:WORD_1
	v_cvt_f32_f16_e32 v11, v42
	v_add_f32_e32 v5, v5, v12
	v_add_f32_e32 v4, v4, v13
	v_max_f32_e32 v4, 0, v4
	v_max_f32_e32 v5, 0, v5
	v_add_f32_e32 v7, v7, v10
	v_add_f32_e32 v6, v6, v11
	v_cvt_f16_f32_e32 v14, v47
	v_cvt_f16_f32_e32 v15, v48
	v_cvt_f16_f32_e32 v5, v5
	v_cvt_f16_f32_e32 v12, v4
	v_max_f32_e32 v6, 0, v6
	v_max_f32_e32 v7, 0, v7
	v_cmp_ge_i32_e64 s[2:3], s8, v46
	v_cvt_f16_f32_e32 v7, v7
	v_cvt_f16_f32_e32 v6, v6
	s_and_b64 s[2:3], s[2:3], vcc
	v_cndmask_b32_e64 v9, v31, 0, s[2:3]
	v_pack_b32_f16 v4, v14, v15
	v_pack_b32_f16 v5, v12, v5
	v_lshl_add_u32 v9, v8, 1, v9
	buffer_store_dwordx2 v[4:5], v9, s[16:19], 0 offen
	v_pack_b32_f16 v5, v6, v7
	v_cvt_f32_f16_sdwa v7, v35 dst_sel:DWORD dst_unused:UNUSED_PAD src0_sel:WORD_1
	v_cvt_f32_f16_e32 v9, v35
	v_cvt_f16_f32_e32 v12, v43
	v_cvt_f16_f32_e32 v13, v44
	v_add_f32_e32 v3, v3, v7
	v_add_f32_e32 v2, v2, v9
	v_max_f32_e32 v2, 0, v2
	v_max_f32_e32 v3, 0, v3
	v_cmp_gt_i32_e64 s[2:3], s8, v30
	v_cvt_f16_f32_e32 v3, v3
	v_cvt_f16_f32_e32 v7, v2
	s_and_b64 s[2:3], s[2:3], s[0:1]
	v_add_u32_e32 v8, s4, v8
	v_cndmask_b32_e64 v6, v31, 0, s[2:3]
	v_pack_b32_f16 v4, v12, v13
	v_lshl_add_u32 v6, v8, 1, v6
	buffer_store_dwordx2 v[4:5], v6, s[16:19], 0 offen
	v_pack_b32_f16 v3, v7, v3
	v_cvt_f32_f16_sdwa v6, v27 dst_sel:DWORD dst_unused:UNUSED_PAD src0_sel:WORD_1
	v_cvt_f32_f16_e32 v7, v27
	v_cvt_f16_f32_e32 v10, v36
	v_cvt_f16_f32_e32 v11, v37
	v_add_f32_e32 v1, v1, v6
	v_add_f32_e32 v0, v0, v7
	v_max_f32_e32 v28, 0, v28
	v_max_f32_e32 v29, 0, v29
	v_cmp_ge_i32_e64 s[2:3], s8, v30
	v_max_f32_e32 v0, 0, v0
	v_max_f32_e32 v1, 0, v1
	v_subrev_u32_e32 v4, s6, v8
	s_and_b64 s[0:1], s[2:3], s[0:1]
	v_cvt_f16_f32_e32 v8, v28
	v_cvt_f16_f32_e32 v9, v29
	;; [unrolled: 1-line block ×4, first 2 shown]
	v_cndmask_b32_e64 v5, v31, 0, s[0:1]
	v_cmp_gt_i32_e64 s[0:1], s8, v26
	v_pack_b32_f16 v2, v10, v11
	v_lshl_add_u32 v5, v4, 1, v5
	s_and_b64 s[0:1], s[0:1], vcc
	buffer_store_dwordx2 v[2:3], v5, s[16:19], 0 offen
	v_subrev_u32_e32 v2, s4, v4
	v_cndmask_b32_e64 v3, v31, 0, s[0:1]
	v_pack_b32_f16 v0, v8, v9
	v_pack_b32_f16 v1, v6, v1
	v_lshl_add_u32 v2, v2, 1, v3
	buffer_store_dwordx2 v[0:1], v2, s[16:19], 0 offen
	s_endpgm
	.section	.rodata,"a",@progbits
	.p2align	6, 0x0
	.amdhsa_kernel _ZN2ck16tensor_operation6device12_GLOBAL__N_137kernel_grouped_conv_fwd_dl_multiple_dINS_32GridwiseGemmDlMultipleD_km_kn_mnILi256EDF16_fNS_5TupleIJDF16_EEEDF16_NS0_12element_wise11PassThroughES8_NS7_7AddReluELNS_25InMemoryDataOperationEnumE0ENS_16TensorDescriptorINS5_IJNS_5EmbedINS5_IJiiiEEESD_Lb0EEENS_11PassThroughIiEENS_3PadIiiiLb0EEESG_SG_NSC_INS5_IJiiEEESJ_Lb0EEESG_NS_23Merge_v2_magic_divisionISJ_EESM_NS_8RightPadIiiLb0EEESO_NS_7UnMergeISJ_Lb0EEESG_EEENS5_IJNS_8SequenceIJLi0EEEENSS_IJLi1EEEENSS_IJLi2EEEENSS_IJLi3EEEENSS_IJLi4EEEENSS_IJLi5EEEENSS_IJLi6EEEENSS_IJLi7ELi9EEEENSS_IJLi8ELi10EEEENSS_IJLi11EEEENSS_IJLi12EEEENSS_IJLi14EEEENSS_IJLi13EEEEEEENS5_IJNSS_IJLi1ELi2ELi3EEEESX_SY_SZ_NSS_IJLi7EEEENSS_IJLi8ELi9EEEENSS_IJLi10EEEES12_S13_S15_S14_NSS_IJLi15ELi16EEEENSS_IJLi17EEEEEEENSS_IJLi15ELi17ELi16EEEElEENSB_INS5_IJSQ_SO_SO_SQ_SG_EEENS5_IJST_SU_SV_SX_SW_EEENS5_IJNSS_IJLi1ELi2EEEESW_SX_NSS_IJLi5ELi6EEEES18_EEENSS_IJLi5ELi7ELi6EEEElEENSB_INS5_IJSK_SO_SO_EEENS5_IJST_SU_SV_EEENS5_IJS1I_SW_SX_EEENSS_IJLi3ELi4EEEElEELi128ELi128ELi16ELi2ELi4ELi4ELi1ENSS_IJLi8ELi2EEEES1S_NSS_IJLi8ELi1ELi1ELi2EEEENSS_IJLi2ELi1ELi128ELi1EEEENSS_IJLi1ELi2ELi0ELi3EEEES1V_NSS_IJLi4ELi1ELi1ELi2EEEES1V_NSS_IJLi1ELi1ELi1ELi2EEEES1T_S1U_S1V_S1V_S1W_S1V_S1X_NSS_IJLi0ELi1ELi2ELi3ELi4ELi5EEEELi5ELi4EEEDF16_NS5_IJPKDF16_EEEDF16_S8_S8_S9_NSB_INS5_IJSE_SG_SI_SG_SG_SK_SG_SM_SM_SO_SO_SQ_SG_SG_NSP_INS5_IJiNS_17integral_constantIiLi128EEEEEELb0EEENSF_INS23_IiLi2EEEEEEEENS5_IJST_SU_SV_SW_SX_SY_SZ_S10_S11_S12_S13_S14_S15_NSS_IJLi15EEEES1C_NSS_IJLi16EEEEEEENS5_IJS17_SX_SY_SZ_S18_S19_S1A_S12_S13_S15_S14_S1B_S1C_NSS_IJLi18EEEENSS_IJLi19ELi20EEEENSS_IJLi21EEEEEEENSS_IJLi18ELi19ELi20ELi21EEEElEENSB_INS5_IJSQ_SO_SO_SQ_SG_SG_S26_S28_EEENS5_IJST_SU_SV_SX_SW_SY_S18_SZ_EEENS5_IJS1I_SW_SX_S1J_S18_NSS_IJLi8EEEENSS_IJLi9ELi10EEEES12_EEENSS_IJLi8ELi9ELi10ELi11EEEElEENS5_IJNSB_INS5_IJSK_SO_SO_NSP_INS5_IJiS27_NS23_IiLi64EEEEEELb0EEES2S_EEENS5_IJST_SU_SV_SW_SX_EEENS5_IJS1I_SW_SX_NSS_IJLi5ELi6ELi7EEEENSS_IJLi8ELi9ELi10EEEEEEENSS_IJLi5ELi6ELi7ELi8ELi9ELi10EEEElEEEEES2Z_NS_31BlockToCTileMap_M00_N00_M01_N01ILi128ELi128ES1R_Lb0EEENS1_30ComputePtrOffsetOfStridedBatchILi1ELi1ELi1EvEELb0ELb0EEEvPKT0_S37_T1_PT2_T3_T4_T5_iT6_T7_T8_T9_T10_T11_
		.amdhsa_group_segment_fixed_size 32768
		.amdhsa_private_segment_fixed_size 0
		.amdhsa_kernarg_size 904
		.amdhsa_user_sgpr_count 6
		.amdhsa_user_sgpr_private_segment_buffer 1
		.amdhsa_user_sgpr_dispatch_ptr 0
		.amdhsa_user_sgpr_queue_ptr 0
		.amdhsa_user_sgpr_kernarg_segment_ptr 1
		.amdhsa_user_sgpr_dispatch_id 0
		.amdhsa_user_sgpr_flat_scratch_init 0
		.amdhsa_user_sgpr_private_segment_size 0
		.amdhsa_uses_dynamic_stack 0
		.amdhsa_system_sgpr_private_segment_wavefront_offset 0
		.amdhsa_system_sgpr_workgroup_id_x 1
		.amdhsa_system_sgpr_workgroup_id_y 0
		.amdhsa_system_sgpr_workgroup_id_z 0
		.amdhsa_system_sgpr_workgroup_info 0
		.amdhsa_system_vgpr_workitem_id 0
		.amdhsa_next_free_vgpr 120
		.amdhsa_next_free_sgpr 98
		.amdhsa_reserve_vcc 1
		.amdhsa_reserve_flat_scratch 0
		.amdhsa_float_round_mode_32 0
		.amdhsa_float_round_mode_16_64 0
		.amdhsa_float_denorm_mode_32 3
		.amdhsa_float_denorm_mode_16_64 3
		.amdhsa_dx10_clamp 1
		.amdhsa_ieee_mode 1
		.amdhsa_fp16_overflow 0
		.amdhsa_exception_fp_ieee_invalid_op 0
		.amdhsa_exception_fp_denorm_src 0
		.amdhsa_exception_fp_ieee_div_zero 0
		.amdhsa_exception_fp_ieee_overflow 0
		.amdhsa_exception_fp_ieee_underflow 0
		.amdhsa_exception_fp_ieee_inexact 0
		.amdhsa_exception_int_div_zero 0
	.end_amdhsa_kernel
	.section	.text._ZN2ck16tensor_operation6device12_GLOBAL__N_137kernel_grouped_conv_fwd_dl_multiple_dINS_32GridwiseGemmDlMultipleD_km_kn_mnILi256EDF16_fNS_5TupleIJDF16_EEEDF16_NS0_12element_wise11PassThroughES8_NS7_7AddReluELNS_25InMemoryDataOperationEnumE0ENS_16TensorDescriptorINS5_IJNS_5EmbedINS5_IJiiiEEESD_Lb0EEENS_11PassThroughIiEENS_3PadIiiiLb0EEESG_SG_NSC_INS5_IJiiEEESJ_Lb0EEESG_NS_23Merge_v2_magic_divisionISJ_EESM_NS_8RightPadIiiLb0EEESO_NS_7UnMergeISJ_Lb0EEESG_EEENS5_IJNS_8SequenceIJLi0EEEENSS_IJLi1EEEENSS_IJLi2EEEENSS_IJLi3EEEENSS_IJLi4EEEENSS_IJLi5EEEENSS_IJLi6EEEENSS_IJLi7ELi9EEEENSS_IJLi8ELi10EEEENSS_IJLi11EEEENSS_IJLi12EEEENSS_IJLi14EEEENSS_IJLi13EEEEEEENS5_IJNSS_IJLi1ELi2ELi3EEEESX_SY_SZ_NSS_IJLi7EEEENSS_IJLi8ELi9EEEENSS_IJLi10EEEES12_S13_S15_S14_NSS_IJLi15ELi16EEEENSS_IJLi17EEEEEEENSS_IJLi15ELi17ELi16EEEElEENSB_INS5_IJSQ_SO_SO_SQ_SG_EEENS5_IJST_SU_SV_SX_SW_EEENS5_IJNSS_IJLi1ELi2EEEESW_SX_NSS_IJLi5ELi6EEEES18_EEENSS_IJLi5ELi7ELi6EEEElEENSB_INS5_IJSK_SO_SO_EEENS5_IJST_SU_SV_EEENS5_IJS1I_SW_SX_EEENSS_IJLi3ELi4EEEElEELi128ELi128ELi16ELi2ELi4ELi4ELi1ENSS_IJLi8ELi2EEEES1S_NSS_IJLi8ELi1ELi1ELi2EEEENSS_IJLi2ELi1ELi128ELi1EEEENSS_IJLi1ELi2ELi0ELi3EEEES1V_NSS_IJLi4ELi1ELi1ELi2EEEES1V_NSS_IJLi1ELi1ELi1ELi2EEEES1T_S1U_S1V_S1V_S1W_S1V_S1X_NSS_IJLi0ELi1ELi2ELi3ELi4ELi5EEEELi5ELi4EEEDF16_NS5_IJPKDF16_EEEDF16_S8_S8_S9_NSB_INS5_IJSE_SG_SI_SG_SG_SK_SG_SM_SM_SO_SO_SQ_SG_SG_NSP_INS5_IJiNS_17integral_constantIiLi128EEEEEELb0EEENSF_INS23_IiLi2EEEEEEEENS5_IJST_SU_SV_SW_SX_SY_SZ_S10_S11_S12_S13_S14_S15_NSS_IJLi15EEEES1C_NSS_IJLi16EEEEEEENS5_IJS17_SX_SY_SZ_S18_S19_S1A_S12_S13_S15_S14_S1B_S1C_NSS_IJLi18EEEENSS_IJLi19ELi20EEEENSS_IJLi21EEEEEEENSS_IJLi18ELi19ELi20ELi21EEEElEENSB_INS5_IJSQ_SO_SO_SQ_SG_SG_S26_S28_EEENS5_IJST_SU_SV_SX_SW_SY_S18_SZ_EEENS5_IJS1I_SW_SX_S1J_S18_NSS_IJLi8EEEENSS_IJLi9ELi10EEEES12_EEENSS_IJLi8ELi9ELi10ELi11EEEElEENS5_IJNSB_INS5_IJSK_SO_SO_NSP_INS5_IJiS27_NS23_IiLi64EEEEEELb0EEES2S_EEENS5_IJST_SU_SV_SW_SX_EEENS5_IJS1I_SW_SX_NSS_IJLi5ELi6ELi7EEEENSS_IJLi8ELi9ELi10EEEEEEENSS_IJLi5ELi6ELi7ELi8ELi9ELi10EEEElEEEEES2Z_NS_31BlockToCTileMap_M00_N00_M01_N01ILi128ELi128ES1R_Lb0EEENS1_30ComputePtrOffsetOfStridedBatchILi1ELi1ELi1EvEELb0ELb0EEEvPKT0_S37_T1_PT2_T3_T4_T5_iT6_T7_T8_T9_T10_T11_,"axG",@progbits,_ZN2ck16tensor_operation6device12_GLOBAL__N_137kernel_grouped_conv_fwd_dl_multiple_dINS_32GridwiseGemmDlMultipleD_km_kn_mnILi256EDF16_fNS_5TupleIJDF16_EEEDF16_NS0_12element_wise11PassThroughES8_NS7_7AddReluELNS_25InMemoryDataOperationEnumE0ENS_16TensorDescriptorINS5_IJNS_5EmbedINS5_IJiiiEEESD_Lb0EEENS_11PassThroughIiEENS_3PadIiiiLb0EEESG_SG_NSC_INS5_IJiiEEESJ_Lb0EEESG_NS_23Merge_v2_magic_divisionISJ_EESM_NS_8RightPadIiiLb0EEESO_NS_7UnMergeISJ_Lb0EEESG_EEENS5_IJNS_8SequenceIJLi0EEEENSS_IJLi1EEEENSS_IJLi2EEEENSS_IJLi3EEEENSS_IJLi4EEEENSS_IJLi5EEEENSS_IJLi6EEEENSS_IJLi7ELi9EEEENSS_IJLi8ELi10EEEENSS_IJLi11EEEENSS_IJLi12EEEENSS_IJLi14EEEENSS_IJLi13EEEEEEENS5_IJNSS_IJLi1ELi2ELi3EEEESX_SY_SZ_NSS_IJLi7EEEENSS_IJLi8ELi9EEEENSS_IJLi10EEEES12_S13_S15_S14_NSS_IJLi15ELi16EEEENSS_IJLi17EEEEEEENSS_IJLi15ELi17ELi16EEEElEENSB_INS5_IJSQ_SO_SO_SQ_SG_EEENS5_IJST_SU_SV_SX_SW_EEENS5_IJNSS_IJLi1ELi2EEEESW_SX_NSS_IJLi5ELi6EEEES18_EEENSS_IJLi5ELi7ELi6EEEElEENSB_INS5_IJSK_SO_SO_EEENS5_IJST_SU_SV_EEENS5_IJS1I_SW_SX_EEENSS_IJLi3ELi4EEEElEELi128ELi128ELi16ELi2ELi4ELi4ELi1ENSS_IJLi8ELi2EEEES1S_NSS_IJLi8ELi1ELi1ELi2EEEENSS_IJLi2ELi1ELi128ELi1EEEENSS_IJLi1ELi2ELi0ELi3EEEES1V_NSS_IJLi4ELi1ELi1ELi2EEEES1V_NSS_IJLi1ELi1ELi1ELi2EEEES1T_S1U_S1V_S1V_S1W_S1V_S1X_NSS_IJLi0ELi1ELi2ELi3ELi4ELi5EEEELi5ELi4EEEDF16_NS5_IJPKDF16_EEEDF16_S8_S8_S9_NSB_INS5_IJSE_SG_SI_SG_SG_SK_SG_SM_SM_SO_SO_SQ_SG_SG_NSP_INS5_IJiNS_17integral_constantIiLi128EEEEEELb0EEENSF_INS23_IiLi2EEEEEEEENS5_IJST_SU_SV_SW_SX_SY_SZ_S10_S11_S12_S13_S14_S15_NSS_IJLi15EEEES1C_NSS_IJLi16EEEEEEENS5_IJS17_SX_SY_SZ_S18_S19_S1A_S12_S13_S15_S14_S1B_S1C_NSS_IJLi18EEEENSS_IJLi19ELi20EEEENSS_IJLi21EEEEEEENSS_IJLi18ELi19ELi20ELi21EEEElEENSB_INS5_IJSQ_SO_SO_SQ_SG_SG_S26_S28_EEENS5_IJST_SU_SV_SX_SW_SY_S18_SZ_EEENS5_IJS1I_SW_SX_S1J_S18_NSS_IJLi8EEEENSS_IJLi9ELi10EEEES12_EEENSS_IJLi8ELi9ELi10ELi11EEEElEENS5_IJNSB_INS5_IJSK_SO_SO_NSP_INS5_IJiS27_NS23_IiLi64EEEEEELb0EEES2S_EEENS5_IJST_SU_SV_SW_SX_EEENS5_IJS1I_SW_SX_NSS_IJLi5ELi6ELi7EEEENSS_IJLi8ELi9ELi10EEEEEEENSS_IJLi5ELi6ELi7ELi8ELi9ELi10EEEElEEEEES2Z_NS_31BlockToCTileMap_M00_N00_M01_N01ILi128ELi128ES1R_Lb0EEENS1_30ComputePtrOffsetOfStridedBatchILi1ELi1ELi1EvEELb0ELb0EEEvPKT0_S37_T1_PT2_T3_T4_T5_iT6_T7_T8_T9_T10_T11_,comdat
.Lfunc_end4:
	.size	_ZN2ck16tensor_operation6device12_GLOBAL__N_137kernel_grouped_conv_fwd_dl_multiple_dINS_32GridwiseGemmDlMultipleD_km_kn_mnILi256EDF16_fNS_5TupleIJDF16_EEEDF16_NS0_12element_wise11PassThroughES8_NS7_7AddReluELNS_25InMemoryDataOperationEnumE0ENS_16TensorDescriptorINS5_IJNS_5EmbedINS5_IJiiiEEESD_Lb0EEENS_11PassThroughIiEENS_3PadIiiiLb0EEESG_SG_NSC_INS5_IJiiEEESJ_Lb0EEESG_NS_23Merge_v2_magic_divisionISJ_EESM_NS_8RightPadIiiLb0EEESO_NS_7UnMergeISJ_Lb0EEESG_EEENS5_IJNS_8SequenceIJLi0EEEENSS_IJLi1EEEENSS_IJLi2EEEENSS_IJLi3EEEENSS_IJLi4EEEENSS_IJLi5EEEENSS_IJLi6EEEENSS_IJLi7ELi9EEEENSS_IJLi8ELi10EEEENSS_IJLi11EEEENSS_IJLi12EEEENSS_IJLi14EEEENSS_IJLi13EEEEEEENS5_IJNSS_IJLi1ELi2ELi3EEEESX_SY_SZ_NSS_IJLi7EEEENSS_IJLi8ELi9EEEENSS_IJLi10EEEES12_S13_S15_S14_NSS_IJLi15ELi16EEEENSS_IJLi17EEEEEEENSS_IJLi15ELi17ELi16EEEElEENSB_INS5_IJSQ_SO_SO_SQ_SG_EEENS5_IJST_SU_SV_SX_SW_EEENS5_IJNSS_IJLi1ELi2EEEESW_SX_NSS_IJLi5ELi6EEEES18_EEENSS_IJLi5ELi7ELi6EEEElEENSB_INS5_IJSK_SO_SO_EEENS5_IJST_SU_SV_EEENS5_IJS1I_SW_SX_EEENSS_IJLi3ELi4EEEElEELi128ELi128ELi16ELi2ELi4ELi4ELi1ENSS_IJLi8ELi2EEEES1S_NSS_IJLi8ELi1ELi1ELi2EEEENSS_IJLi2ELi1ELi128ELi1EEEENSS_IJLi1ELi2ELi0ELi3EEEES1V_NSS_IJLi4ELi1ELi1ELi2EEEES1V_NSS_IJLi1ELi1ELi1ELi2EEEES1T_S1U_S1V_S1V_S1W_S1V_S1X_NSS_IJLi0ELi1ELi2ELi3ELi4ELi5EEEELi5ELi4EEEDF16_NS5_IJPKDF16_EEEDF16_S8_S8_S9_NSB_INS5_IJSE_SG_SI_SG_SG_SK_SG_SM_SM_SO_SO_SQ_SG_SG_NSP_INS5_IJiNS_17integral_constantIiLi128EEEEEELb0EEENSF_INS23_IiLi2EEEEEEEENS5_IJST_SU_SV_SW_SX_SY_SZ_S10_S11_S12_S13_S14_S15_NSS_IJLi15EEEES1C_NSS_IJLi16EEEEEEENS5_IJS17_SX_SY_SZ_S18_S19_S1A_S12_S13_S15_S14_S1B_S1C_NSS_IJLi18EEEENSS_IJLi19ELi20EEEENSS_IJLi21EEEEEEENSS_IJLi18ELi19ELi20ELi21EEEElEENSB_INS5_IJSQ_SO_SO_SQ_SG_SG_S26_S28_EEENS5_IJST_SU_SV_SX_SW_SY_S18_SZ_EEENS5_IJS1I_SW_SX_S1J_S18_NSS_IJLi8EEEENSS_IJLi9ELi10EEEES12_EEENSS_IJLi8ELi9ELi10ELi11EEEElEENS5_IJNSB_INS5_IJSK_SO_SO_NSP_INS5_IJiS27_NS23_IiLi64EEEEEELb0EEES2S_EEENS5_IJST_SU_SV_SW_SX_EEENS5_IJS1I_SW_SX_NSS_IJLi5ELi6ELi7EEEENSS_IJLi8ELi9ELi10EEEEEEENSS_IJLi5ELi6ELi7ELi8ELi9ELi10EEEElEEEEES2Z_NS_31BlockToCTileMap_M00_N00_M01_N01ILi128ELi128ES1R_Lb0EEENS1_30ComputePtrOffsetOfStridedBatchILi1ELi1ELi1EvEELb0ELb0EEEvPKT0_S37_T1_PT2_T3_T4_T5_iT6_T7_T8_T9_T10_T11_, .Lfunc_end4-_ZN2ck16tensor_operation6device12_GLOBAL__N_137kernel_grouped_conv_fwd_dl_multiple_dINS_32GridwiseGemmDlMultipleD_km_kn_mnILi256EDF16_fNS_5TupleIJDF16_EEEDF16_NS0_12element_wise11PassThroughES8_NS7_7AddReluELNS_25InMemoryDataOperationEnumE0ENS_16TensorDescriptorINS5_IJNS_5EmbedINS5_IJiiiEEESD_Lb0EEENS_11PassThroughIiEENS_3PadIiiiLb0EEESG_SG_NSC_INS5_IJiiEEESJ_Lb0EEESG_NS_23Merge_v2_magic_divisionISJ_EESM_NS_8RightPadIiiLb0EEESO_NS_7UnMergeISJ_Lb0EEESG_EEENS5_IJNS_8SequenceIJLi0EEEENSS_IJLi1EEEENSS_IJLi2EEEENSS_IJLi3EEEENSS_IJLi4EEEENSS_IJLi5EEEENSS_IJLi6EEEENSS_IJLi7ELi9EEEENSS_IJLi8ELi10EEEENSS_IJLi11EEEENSS_IJLi12EEEENSS_IJLi14EEEENSS_IJLi13EEEEEEENS5_IJNSS_IJLi1ELi2ELi3EEEESX_SY_SZ_NSS_IJLi7EEEENSS_IJLi8ELi9EEEENSS_IJLi10EEEES12_S13_S15_S14_NSS_IJLi15ELi16EEEENSS_IJLi17EEEEEEENSS_IJLi15ELi17ELi16EEEElEENSB_INS5_IJSQ_SO_SO_SQ_SG_EEENS5_IJST_SU_SV_SX_SW_EEENS5_IJNSS_IJLi1ELi2EEEESW_SX_NSS_IJLi5ELi6EEEES18_EEENSS_IJLi5ELi7ELi6EEEElEENSB_INS5_IJSK_SO_SO_EEENS5_IJST_SU_SV_EEENS5_IJS1I_SW_SX_EEENSS_IJLi3ELi4EEEElEELi128ELi128ELi16ELi2ELi4ELi4ELi1ENSS_IJLi8ELi2EEEES1S_NSS_IJLi8ELi1ELi1ELi2EEEENSS_IJLi2ELi1ELi128ELi1EEEENSS_IJLi1ELi2ELi0ELi3EEEES1V_NSS_IJLi4ELi1ELi1ELi2EEEES1V_NSS_IJLi1ELi1ELi1ELi2EEEES1T_S1U_S1V_S1V_S1W_S1V_S1X_NSS_IJLi0ELi1ELi2ELi3ELi4ELi5EEEELi5ELi4EEEDF16_NS5_IJPKDF16_EEEDF16_S8_S8_S9_NSB_INS5_IJSE_SG_SI_SG_SG_SK_SG_SM_SM_SO_SO_SQ_SG_SG_NSP_INS5_IJiNS_17integral_constantIiLi128EEEEEELb0EEENSF_INS23_IiLi2EEEEEEEENS5_IJST_SU_SV_SW_SX_SY_SZ_S10_S11_S12_S13_S14_S15_NSS_IJLi15EEEES1C_NSS_IJLi16EEEEEEENS5_IJS17_SX_SY_SZ_S18_S19_S1A_S12_S13_S15_S14_S1B_S1C_NSS_IJLi18EEEENSS_IJLi19ELi20EEEENSS_IJLi21EEEEEEENSS_IJLi18ELi19ELi20ELi21EEEElEENSB_INS5_IJSQ_SO_SO_SQ_SG_SG_S26_S28_EEENS5_IJST_SU_SV_SX_SW_SY_S18_SZ_EEENS5_IJS1I_SW_SX_S1J_S18_NSS_IJLi8EEEENSS_IJLi9ELi10EEEES12_EEENSS_IJLi8ELi9ELi10ELi11EEEElEENS5_IJNSB_INS5_IJSK_SO_SO_NSP_INS5_IJiS27_NS23_IiLi64EEEEEELb0EEES2S_EEENS5_IJST_SU_SV_SW_SX_EEENS5_IJS1I_SW_SX_NSS_IJLi5ELi6ELi7EEEENSS_IJLi8ELi9ELi10EEEEEEENSS_IJLi5ELi6ELi7ELi8ELi9ELi10EEEElEEEEES2Z_NS_31BlockToCTileMap_M00_N00_M01_N01ILi128ELi128ES1R_Lb0EEENS1_30ComputePtrOffsetOfStridedBatchILi1ELi1ELi1EvEELb0ELb0EEEvPKT0_S37_T1_PT2_T3_T4_T5_iT6_T7_T8_T9_T10_T11_
                                        ; -- End function
	.set _ZN2ck16tensor_operation6device12_GLOBAL__N_137kernel_grouped_conv_fwd_dl_multiple_dINS_32GridwiseGemmDlMultipleD_km_kn_mnILi256EDF16_fNS_5TupleIJDF16_EEEDF16_NS0_12element_wise11PassThroughES8_NS7_7AddReluELNS_25InMemoryDataOperationEnumE0ENS_16TensorDescriptorINS5_IJNS_5EmbedINS5_IJiiiEEESD_Lb0EEENS_11PassThroughIiEENS_3PadIiiiLb0EEESG_SG_NSC_INS5_IJiiEEESJ_Lb0EEESG_NS_23Merge_v2_magic_divisionISJ_EESM_NS_8RightPadIiiLb0EEESO_NS_7UnMergeISJ_Lb0EEESG_EEENS5_IJNS_8SequenceIJLi0EEEENSS_IJLi1EEEENSS_IJLi2EEEENSS_IJLi3EEEENSS_IJLi4EEEENSS_IJLi5EEEENSS_IJLi6EEEENSS_IJLi7ELi9EEEENSS_IJLi8ELi10EEEENSS_IJLi11EEEENSS_IJLi12EEEENSS_IJLi14EEEENSS_IJLi13EEEEEEENS5_IJNSS_IJLi1ELi2ELi3EEEESX_SY_SZ_NSS_IJLi7EEEENSS_IJLi8ELi9EEEENSS_IJLi10EEEES12_S13_S15_S14_NSS_IJLi15ELi16EEEENSS_IJLi17EEEEEEENSS_IJLi15ELi17ELi16EEEElEENSB_INS5_IJSQ_SO_SO_SQ_SG_EEENS5_IJST_SU_SV_SX_SW_EEENS5_IJNSS_IJLi1ELi2EEEESW_SX_NSS_IJLi5ELi6EEEES18_EEENSS_IJLi5ELi7ELi6EEEElEENSB_INS5_IJSK_SO_SO_EEENS5_IJST_SU_SV_EEENS5_IJS1I_SW_SX_EEENSS_IJLi3ELi4EEEElEELi128ELi128ELi16ELi2ELi4ELi4ELi1ENSS_IJLi8ELi2EEEES1S_NSS_IJLi8ELi1ELi1ELi2EEEENSS_IJLi2ELi1ELi128ELi1EEEENSS_IJLi1ELi2ELi0ELi3EEEES1V_NSS_IJLi4ELi1ELi1ELi2EEEES1V_NSS_IJLi1ELi1ELi1ELi2EEEES1T_S1U_S1V_S1V_S1W_S1V_S1X_NSS_IJLi0ELi1ELi2ELi3ELi4ELi5EEEELi5ELi4EEEDF16_NS5_IJPKDF16_EEEDF16_S8_S8_S9_NSB_INS5_IJSE_SG_SI_SG_SG_SK_SG_SM_SM_SO_SO_SQ_SG_SG_NSP_INS5_IJiNS_17integral_constantIiLi128EEEEEELb0EEENSF_INS23_IiLi2EEEEEEEENS5_IJST_SU_SV_SW_SX_SY_SZ_S10_S11_S12_S13_S14_S15_NSS_IJLi15EEEES1C_NSS_IJLi16EEEEEEENS5_IJS17_SX_SY_SZ_S18_S19_S1A_S12_S13_S15_S14_S1B_S1C_NSS_IJLi18EEEENSS_IJLi19ELi20EEEENSS_IJLi21EEEEEEENSS_IJLi18ELi19ELi20ELi21EEEElEENSB_INS5_IJSQ_SO_SO_SQ_SG_SG_S26_S28_EEENS5_IJST_SU_SV_SX_SW_SY_S18_SZ_EEENS5_IJS1I_SW_SX_S1J_S18_NSS_IJLi8EEEENSS_IJLi9ELi10EEEES12_EEENSS_IJLi8ELi9ELi10ELi11EEEElEENS5_IJNSB_INS5_IJSK_SO_SO_NSP_INS5_IJiS27_NS23_IiLi64EEEEEELb0EEES2S_EEENS5_IJST_SU_SV_SW_SX_EEENS5_IJS1I_SW_SX_NSS_IJLi5ELi6ELi7EEEENSS_IJLi8ELi9ELi10EEEEEEENSS_IJLi5ELi6ELi7ELi8ELi9ELi10EEEElEEEEES2Z_NS_31BlockToCTileMap_M00_N00_M01_N01ILi128ELi128ES1R_Lb0EEENS1_30ComputePtrOffsetOfStridedBatchILi1ELi1ELi1EvEELb0ELb0EEEvPKT0_S37_T1_PT2_T3_T4_T5_iT6_T7_T8_T9_T10_T11_.num_vgpr, 120
	.set _ZN2ck16tensor_operation6device12_GLOBAL__N_137kernel_grouped_conv_fwd_dl_multiple_dINS_32GridwiseGemmDlMultipleD_km_kn_mnILi256EDF16_fNS_5TupleIJDF16_EEEDF16_NS0_12element_wise11PassThroughES8_NS7_7AddReluELNS_25InMemoryDataOperationEnumE0ENS_16TensorDescriptorINS5_IJNS_5EmbedINS5_IJiiiEEESD_Lb0EEENS_11PassThroughIiEENS_3PadIiiiLb0EEESG_SG_NSC_INS5_IJiiEEESJ_Lb0EEESG_NS_23Merge_v2_magic_divisionISJ_EESM_NS_8RightPadIiiLb0EEESO_NS_7UnMergeISJ_Lb0EEESG_EEENS5_IJNS_8SequenceIJLi0EEEENSS_IJLi1EEEENSS_IJLi2EEEENSS_IJLi3EEEENSS_IJLi4EEEENSS_IJLi5EEEENSS_IJLi6EEEENSS_IJLi7ELi9EEEENSS_IJLi8ELi10EEEENSS_IJLi11EEEENSS_IJLi12EEEENSS_IJLi14EEEENSS_IJLi13EEEEEEENS5_IJNSS_IJLi1ELi2ELi3EEEESX_SY_SZ_NSS_IJLi7EEEENSS_IJLi8ELi9EEEENSS_IJLi10EEEES12_S13_S15_S14_NSS_IJLi15ELi16EEEENSS_IJLi17EEEEEEENSS_IJLi15ELi17ELi16EEEElEENSB_INS5_IJSQ_SO_SO_SQ_SG_EEENS5_IJST_SU_SV_SX_SW_EEENS5_IJNSS_IJLi1ELi2EEEESW_SX_NSS_IJLi5ELi6EEEES18_EEENSS_IJLi5ELi7ELi6EEEElEENSB_INS5_IJSK_SO_SO_EEENS5_IJST_SU_SV_EEENS5_IJS1I_SW_SX_EEENSS_IJLi3ELi4EEEElEELi128ELi128ELi16ELi2ELi4ELi4ELi1ENSS_IJLi8ELi2EEEES1S_NSS_IJLi8ELi1ELi1ELi2EEEENSS_IJLi2ELi1ELi128ELi1EEEENSS_IJLi1ELi2ELi0ELi3EEEES1V_NSS_IJLi4ELi1ELi1ELi2EEEES1V_NSS_IJLi1ELi1ELi1ELi2EEEES1T_S1U_S1V_S1V_S1W_S1V_S1X_NSS_IJLi0ELi1ELi2ELi3ELi4ELi5EEEELi5ELi4EEEDF16_NS5_IJPKDF16_EEEDF16_S8_S8_S9_NSB_INS5_IJSE_SG_SI_SG_SG_SK_SG_SM_SM_SO_SO_SQ_SG_SG_NSP_INS5_IJiNS_17integral_constantIiLi128EEEEEELb0EEENSF_INS23_IiLi2EEEEEEEENS5_IJST_SU_SV_SW_SX_SY_SZ_S10_S11_S12_S13_S14_S15_NSS_IJLi15EEEES1C_NSS_IJLi16EEEEEEENS5_IJS17_SX_SY_SZ_S18_S19_S1A_S12_S13_S15_S14_S1B_S1C_NSS_IJLi18EEEENSS_IJLi19ELi20EEEENSS_IJLi21EEEEEEENSS_IJLi18ELi19ELi20ELi21EEEElEENSB_INS5_IJSQ_SO_SO_SQ_SG_SG_S26_S28_EEENS5_IJST_SU_SV_SX_SW_SY_S18_SZ_EEENS5_IJS1I_SW_SX_S1J_S18_NSS_IJLi8EEEENSS_IJLi9ELi10EEEES12_EEENSS_IJLi8ELi9ELi10ELi11EEEElEENS5_IJNSB_INS5_IJSK_SO_SO_NSP_INS5_IJiS27_NS23_IiLi64EEEEEELb0EEES2S_EEENS5_IJST_SU_SV_SW_SX_EEENS5_IJS1I_SW_SX_NSS_IJLi5ELi6ELi7EEEENSS_IJLi8ELi9ELi10EEEEEEENSS_IJLi5ELi6ELi7ELi8ELi9ELi10EEEElEEEEES2Z_NS_31BlockToCTileMap_M00_N00_M01_N01ILi128ELi128ES1R_Lb0EEENS1_30ComputePtrOffsetOfStridedBatchILi1ELi1ELi1EvEELb0ELb0EEEvPKT0_S37_T1_PT2_T3_T4_T5_iT6_T7_T8_T9_T10_T11_.num_agpr, 0
	.set _ZN2ck16tensor_operation6device12_GLOBAL__N_137kernel_grouped_conv_fwd_dl_multiple_dINS_32GridwiseGemmDlMultipleD_km_kn_mnILi256EDF16_fNS_5TupleIJDF16_EEEDF16_NS0_12element_wise11PassThroughES8_NS7_7AddReluELNS_25InMemoryDataOperationEnumE0ENS_16TensorDescriptorINS5_IJNS_5EmbedINS5_IJiiiEEESD_Lb0EEENS_11PassThroughIiEENS_3PadIiiiLb0EEESG_SG_NSC_INS5_IJiiEEESJ_Lb0EEESG_NS_23Merge_v2_magic_divisionISJ_EESM_NS_8RightPadIiiLb0EEESO_NS_7UnMergeISJ_Lb0EEESG_EEENS5_IJNS_8SequenceIJLi0EEEENSS_IJLi1EEEENSS_IJLi2EEEENSS_IJLi3EEEENSS_IJLi4EEEENSS_IJLi5EEEENSS_IJLi6EEEENSS_IJLi7ELi9EEEENSS_IJLi8ELi10EEEENSS_IJLi11EEEENSS_IJLi12EEEENSS_IJLi14EEEENSS_IJLi13EEEEEEENS5_IJNSS_IJLi1ELi2ELi3EEEESX_SY_SZ_NSS_IJLi7EEEENSS_IJLi8ELi9EEEENSS_IJLi10EEEES12_S13_S15_S14_NSS_IJLi15ELi16EEEENSS_IJLi17EEEEEEENSS_IJLi15ELi17ELi16EEEElEENSB_INS5_IJSQ_SO_SO_SQ_SG_EEENS5_IJST_SU_SV_SX_SW_EEENS5_IJNSS_IJLi1ELi2EEEESW_SX_NSS_IJLi5ELi6EEEES18_EEENSS_IJLi5ELi7ELi6EEEElEENSB_INS5_IJSK_SO_SO_EEENS5_IJST_SU_SV_EEENS5_IJS1I_SW_SX_EEENSS_IJLi3ELi4EEEElEELi128ELi128ELi16ELi2ELi4ELi4ELi1ENSS_IJLi8ELi2EEEES1S_NSS_IJLi8ELi1ELi1ELi2EEEENSS_IJLi2ELi1ELi128ELi1EEEENSS_IJLi1ELi2ELi0ELi3EEEES1V_NSS_IJLi4ELi1ELi1ELi2EEEES1V_NSS_IJLi1ELi1ELi1ELi2EEEES1T_S1U_S1V_S1V_S1W_S1V_S1X_NSS_IJLi0ELi1ELi2ELi3ELi4ELi5EEEELi5ELi4EEEDF16_NS5_IJPKDF16_EEEDF16_S8_S8_S9_NSB_INS5_IJSE_SG_SI_SG_SG_SK_SG_SM_SM_SO_SO_SQ_SG_SG_NSP_INS5_IJiNS_17integral_constantIiLi128EEEEEELb0EEENSF_INS23_IiLi2EEEEEEEENS5_IJST_SU_SV_SW_SX_SY_SZ_S10_S11_S12_S13_S14_S15_NSS_IJLi15EEEES1C_NSS_IJLi16EEEEEEENS5_IJS17_SX_SY_SZ_S18_S19_S1A_S12_S13_S15_S14_S1B_S1C_NSS_IJLi18EEEENSS_IJLi19ELi20EEEENSS_IJLi21EEEEEEENSS_IJLi18ELi19ELi20ELi21EEEElEENSB_INS5_IJSQ_SO_SO_SQ_SG_SG_S26_S28_EEENS5_IJST_SU_SV_SX_SW_SY_S18_SZ_EEENS5_IJS1I_SW_SX_S1J_S18_NSS_IJLi8EEEENSS_IJLi9ELi10EEEES12_EEENSS_IJLi8ELi9ELi10ELi11EEEElEENS5_IJNSB_INS5_IJSK_SO_SO_NSP_INS5_IJiS27_NS23_IiLi64EEEEEELb0EEES2S_EEENS5_IJST_SU_SV_SW_SX_EEENS5_IJS1I_SW_SX_NSS_IJLi5ELi6ELi7EEEENSS_IJLi8ELi9ELi10EEEEEEENSS_IJLi5ELi6ELi7ELi8ELi9ELi10EEEElEEEEES2Z_NS_31BlockToCTileMap_M00_N00_M01_N01ILi128ELi128ES1R_Lb0EEENS1_30ComputePtrOffsetOfStridedBatchILi1ELi1ELi1EvEELb0ELb0EEEvPKT0_S37_T1_PT2_T3_T4_T5_iT6_T7_T8_T9_T10_T11_.numbered_sgpr, 51
	.set _ZN2ck16tensor_operation6device12_GLOBAL__N_137kernel_grouped_conv_fwd_dl_multiple_dINS_32GridwiseGemmDlMultipleD_km_kn_mnILi256EDF16_fNS_5TupleIJDF16_EEEDF16_NS0_12element_wise11PassThroughES8_NS7_7AddReluELNS_25InMemoryDataOperationEnumE0ENS_16TensorDescriptorINS5_IJNS_5EmbedINS5_IJiiiEEESD_Lb0EEENS_11PassThroughIiEENS_3PadIiiiLb0EEESG_SG_NSC_INS5_IJiiEEESJ_Lb0EEESG_NS_23Merge_v2_magic_divisionISJ_EESM_NS_8RightPadIiiLb0EEESO_NS_7UnMergeISJ_Lb0EEESG_EEENS5_IJNS_8SequenceIJLi0EEEENSS_IJLi1EEEENSS_IJLi2EEEENSS_IJLi3EEEENSS_IJLi4EEEENSS_IJLi5EEEENSS_IJLi6EEEENSS_IJLi7ELi9EEEENSS_IJLi8ELi10EEEENSS_IJLi11EEEENSS_IJLi12EEEENSS_IJLi14EEEENSS_IJLi13EEEEEEENS5_IJNSS_IJLi1ELi2ELi3EEEESX_SY_SZ_NSS_IJLi7EEEENSS_IJLi8ELi9EEEENSS_IJLi10EEEES12_S13_S15_S14_NSS_IJLi15ELi16EEEENSS_IJLi17EEEEEEENSS_IJLi15ELi17ELi16EEEElEENSB_INS5_IJSQ_SO_SO_SQ_SG_EEENS5_IJST_SU_SV_SX_SW_EEENS5_IJNSS_IJLi1ELi2EEEESW_SX_NSS_IJLi5ELi6EEEES18_EEENSS_IJLi5ELi7ELi6EEEElEENSB_INS5_IJSK_SO_SO_EEENS5_IJST_SU_SV_EEENS5_IJS1I_SW_SX_EEENSS_IJLi3ELi4EEEElEELi128ELi128ELi16ELi2ELi4ELi4ELi1ENSS_IJLi8ELi2EEEES1S_NSS_IJLi8ELi1ELi1ELi2EEEENSS_IJLi2ELi1ELi128ELi1EEEENSS_IJLi1ELi2ELi0ELi3EEEES1V_NSS_IJLi4ELi1ELi1ELi2EEEES1V_NSS_IJLi1ELi1ELi1ELi2EEEES1T_S1U_S1V_S1V_S1W_S1V_S1X_NSS_IJLi0ELi1ELi2ELi3ELi4ELi5EEEELi5ELi4EEEDF16_NS5_IJPKDF16_EEEDF16_S8_S8_S9_NSB_INS5_IJSE_SG_SI_SG_SG_SK_SG_SM_SM_SO_SO_SQ_SG_SG_NSP_INS5_IJiNS_17integral_constantIiLi128EEEEEELb0EEENSF_INS23_IiLi2EEEEEEEENS5_IJST_SU_SV_SW_SX_SY_SZ_S10_S11_S12_S13_S14_S15_NSS_IJLi15EEEES1C_NSS_IJLi16EEEEEEENS5_IJS17_SX_SY_SZ_S18_S19_S1A_S12_S13_S15_S14_S1B_S1C_NSS_IJLi18EEEENSS_IJLi19ELi20EEEENSS_IJLi21EEEEEEENSS_IJLi18ELi19ELi20ELi21EEEElEENSB_INS5_IJSQ_SO_SO_SQ_SG_SG_S26_S28_EEENS5_IJST_SU_SV_SX_SW_SY_S18_SZ_EEENS5_IJS1I_SW_SX_S1J_S18_NSS_IJLi8EEEENSS_IJLi9ELi10EEEES12_EEENSS_IJLi8ELi9ELi10ELi11EEEElEENS5_IJNSB_INS5_IJSK_SO_SO_NSP_INS5_IJiS27_NS23_IiLi64EEEEEELb0EEES2S_EEENS5_IJST_SU_SV_SW_SX_EEENS5_IJS1I_SW_SX_NSS_IJLi5ELi6ELi7EEEENSS_IJLi8ELi9ELi10EEEEEEENSS_IJLi5ELi6ELi7ELi8ELi9ELi10EEEElEEEEES2Z_NS_31BlockToCTileMap_M00_N00_M01_N01ILi128ELi128ES1R_Lb0EEENS1_30ComputePtrOffsetOfStridedBatchILi1ELi1ELi1EvEELb0ELb0EEEvPKT0_S37_T1_PT2_T3_T4_T5_iT6_T7_T8_T9_T10_T11_.num_named_barrier, 0
	.set _ZN2ck16tensor_operation6device12_GLOBAL__N_137kernel_grouped_conv_fwd_dl_multiple_dINS_32GridwiseGemmDlMultipleD_km_kn_mnILi256EDF16_fNS_5TupleIJDF16_EEEDF16_NS0_12element_wise11PassThroughES8_NS7_7AddReluELNS_25InMemoryDataOperationEnumE0ENS_16TensorDescriptorINS5_IJNS_5EmbedINS5_IJiiiEEESD_Lb0EEENS_11PassThroughIiEENS_3PadIiiiLb0EEESG_SG_NSC_INS5_IJiiEEESJ_Lb0EEESG_NS_23Merge_v2_magic_divisionISJ_EESM_NS_8RightPadIiiLb0EEESO_NS_7UnMergeISJ_Lb0EEESG_EEENS5_IJNS_8SequenceIJLi0EEEENSS_IJLi1EEEENSS_IJLi2EEEENSS_IJLi3EEEENSS_IJLi4EEEENSS_IJLi5EEEENSS_IJLi6EEEENSS_IJLi7ELi9EEEENSS_IJLi8ELi10EEEENSS_IJLi11EEEENSS_IJLi12EEEENSS_IJLi14EEEENSS_IJLi13EEEEEEENS5_IJNSS_IJLi1ELi2ELi3EEEESX_SY_SZ_NSS_IJLi7EEEENSS_IJLi8ELi9EEEENSS_IJLi10EEEES12_S13_S15_S14_NSS_IJLi15ELi16EEEENSS_IJLi17EEEEEEENSS_IJLi15ELi17ELi16EEEElEENSB_INS5_IJSQ_SO_SO_SQ_SG_EEENS5_IJST_SU_SV_SX_SW_EEENS5_IJNSS_IJLi1ELi2EEEESW_SX_NSS_IJLi5ELi6EEEES18_EEENSS_IJLi5ELi7ELi6EEEElEENSB_INS5_IJSK_SO_SO_EEENS5_IJST_SU_SV_EEENS5_IJS1I_SW_SX_EEENSS_IJLi3ELi4EEEElEELi128ELi128ELi16ELi2ELi4ELi4ELi1ENSS_IJLi8ELi2EEEES1S_NSS_IJLi8ELi1ELi1ELi2EEEENSS_IJLi2ELi1ELi128ELi1EEEENSS_IJLi1ELi2ELi0ELi3EEEES1V_NSS_IJLi4ELi1ELi1ELi2EEEES1V_NSS_IJLi1ELi1ELi1ELi2EEEES1T_S1U_S1V_S1V_S1W_S1V_S1X_NSS_IJLi0ELi1ELi2ELi3ELi4ELi5EEEELi5ELi4EEEDF16_NS5_IJPKDF16_EEEDF16_S8_S8_S9_NSB_INS5_IJSE_SG_SI_SG_SG_SK_SG_SM_SM_SO_SO_SQ_SG_SG_NSP_INS5_IJiNS_17integral_constantIiLi128EEEEEELb0EEENSF_INS23_IiLi2EEEEEEEENS5_IJST_SU_SV_SW_SX_SY_SZ_S10_S11_S12_S13_S14_S15_NSS_IJLi15EEEES1C_NSS_IJLi16EEEEEEENS5_IJS17_SX_SY_SZ_S18_S19_S1A_S12_S13_S15_S14_S1B_S1C_NSS_IJLi18EEEENSS_IJLi19ELi20EEEENSS_IJLi21EEEEEEENSS_IJLi18ELi19ELi20ELi21EEEElEENSB_INS5_IJSQ_SO_SO_SQ_SG_SG_S26_S28_EEENS5_IJST_SU_SV_SX_SW_SY_S18_SZ_EEENS5_IJS1I_SW_SX_S1J_S18_NSS_IJLi8EEEENSS_IJLi9ELi10EEEES12_EEENSS_IJLi8ELi9ELi10ELi11EEEElEENS5_IJNSB_INS5_IJSK_SO_SO_NSP_INS5_IJiS27_NS23_IiLi64EEEEEELb0EEES2S_EEENS5_IJST_SU_SV_SW_SX_EEENS5_IJS1I_SW_SX_NSS_IJLi5ELi6ELi7EEEENSS_IJLi8ELi9ELi10EEEEEEENSS_IJLi5ELi6ELi7ELi8ELi9ELi10EEEElEEEEES2Z_NS_31BlockToCTileMap_M00_N00_M01_N01ILi128ELi128ES1R_Lb0EEENS1_30ComputePtrOffsetOfStridedBatchILi1ELi1ELi1EvEELb0ELb0EEEvPKT0_S37_T1_PT2_T3_T4_T5_iT6_T7_T8_T9_T10_T11_.private_seg_size, 0
	.set _ZN2ck16tensor_operation6device12_GLOBAL__N_137kernel_grouped_conv_fwd_dl_multiple_dINS_32GridwiseGemmDlMultipleD_km_kn_mnILi256EDF16_fNS_5TupleIJDF16_EEEDF16_NS0_12element_wise11PassThroughES8_NS7_7AddReluELNS_25InMemoryDataOperationEnumE0ENS_16TensorDescriptorINS5_IJNS_5EmbedINS5_IJiiiEEESD_Lb0EEENS_11PassThroughIiEENS_3PadIiiiLb0EEESG_SG_NSC_INS5_IJiiEEESJ_Lb0EEESG_NS_23Merge_v2_magic_divisionISJ_EESM_NS_8RightPadIiiLb0EEESO_NS_7UnMergeISJ_Lb0EEESG_EEENS5_IJNS_8SequenceIJLi0EEEENSS_IJLi1EEEENSS_IJLi2EEEENSS_IJLi3EEEENSS_IJLi4EEEENSS_IJLi5EEEENSS_IJLi6EEEENSS_IJLi7ELi9EEEENSS_IJLi8ELi10EEEENSS_IJLi11EEEENSS_IJLi12EEEENSS_IJLi14EEEENSS_IJLi13EEEEEEENS5_IJNSS_IJLi1ELi2ELi3EEEESX_SY_SZ_NSS_IJLi7EEEENSS_IJLi8ELi9EEEENSS_IJLi10EEEES12_S13_S15_S14_NSS_IJLi15ELi16EEEENSS_IJLi17EEEEEEENSS_IJLi15ELi17ELi16EEEElEENSB_INS5_IJSQ_SO_SO_SQ_SG_EEENS5_IJST_SU_SV_SX_SW_EEENS5_IJNSS_IJLi1ELi2EEEESW_SX_NSS_IJLi5ELi6EEEES18_EEENSS_IJLi5ELi7ELi6EEEElEENSB_INS5_IJSK_SO_SO_EEENS5_IJST_SU_SV_EEENS5_IJS1I_SW_SX_EEENSS_IJLi3ELi4EEEElEELi128ELi128ELi16ELi2ELi4ELi4ELi1ENSS_IJLi8ELi2EEEES1S_NSS_IJLi8ELi1ELi1ELi2EEEENSS_IJLi2ELi1ELi128ELi1EEEENSS_IJLi1ELi2ELi0ELi3EEEES1V_NSS_IJLi4ELi1ELi1ELi2EEEES1V_NSS_IJLi1ELi1ELi1ELi2EEEES1T_S1U_S1V_S1V_S1W_S1V_S1X_NSS_IJLi0ELi1ELi2ELi3ELi4ELi5EEEELi5ELi4EEEDF16_NS5_IJPKDF16_EEEDF16_S8_S8_S9_NSB_INS5_IJSE_SG_SI_SG_SG_SK_SG_SM_SM_SO_SO_SQ_SG_SG_NSP_INS5_IJiNS_17integral_constantIiLi128EEEEEELb0EEENSF_INS23_IiLi2EEEEEEEENS5_IJST_SU_SV_SW_SX_SY_SZ_S10_S11_S12_S13_S14_S15_NSS_IJLi15EEEES1C_NSS_IJLi16EEEEEEENS5_IJS17_SX_SY_SZ_S18_S19_S1A_S12_S13_S15_S14_S1B_S1C_NSS_IJLi18EEEENSS_IJLi19ELi20EEEENSS_IJLi21EEEEEEENSS_IJLi18ELi19ELi20ELi21EEEElEENSB_INS5_IJSQ_SO_SO_SQ_SG_SG_S26_S28_EEENS5_IJST_SU_SV_SX_SW_SY_S18_SZ_EEENS5_IJS1I_SW_SX_S1J_S18_NSS_IJLi8EEEENSS_IJLi9ELi10EEEES12_EEENSS_IJLi8ELi9ELi10ELi11EEEElEENS5_IJNSB_INS5_IJSK_SO_SO_NSP_INS5_IJiS27_NS23_IiLi64EEEEEELb0EEES2S_EEENS5_IJST_SU_SV_SW_SX_EEENS5_IJS1I_SW_SX_NSS_IJLi5ELi6ELi7EEEENSS_IJLi8ELi9ELi10EEEEEEENSS_IJLi5ELi6ELi7ELi8ELi9ELi10EEEElEEEEES2Z_NS_31BlockToCTileMap_M00_N00_M01_N01ILi128ELi128ES1R_Lb0EEENS1_30ComputePtrOffsetOfStridedBatchILi1ELi1ELi1EvEELb0ELb0EEEvPKT0_S37_T1_PT2_T3_T4_T5_iT6_T7_T8_T9_T10_T11_.uses_vcc, 1
	.set _ZN2ck16tensor_operation6device12_GLOBAL__N_137kernel_grouped_conv_fwd_dl_multiple_dINS_32GridwiseGemmDlMultipleD_km_kn_mnILi256EDF16_fNS_5TupleIJDF16_EEEDF16_NS0_12element_wise11PassThroughES8_NS7_7AddReluELNS_25InMemoryDataOperationEnumE0ENS_16TensorDescriptorINS5_IJNS_5EmbedINS5_IJiiiEEESD_Lb0EEENS_11PassThroughIiEENS_3PadIiiiLb0EEESG_SG_NSC_INS5_IJiiEEESJ_Lb0EEESG_NS_23Merge_v2_magic_divisionISJ_EESM_NS_8RightPadIiiLb0EEESO_NS_7UnMergeISJ_Lb0EEESG_EEENS5_IJNS_8SequenceIJLi0EEEENSS_IJLi1EEEENSS_IJLi2EEEENSS_IJLi3EEEENSS_IJLi4EEEENSS_IJLi5EEEENSS_IJLi6EEEENSS_IJLi7ELi9EEEENSS_IJLi8ELi10EEEENSS_IJLi11EEEENSS_IJLi12EEEENSS_IJLi14EEEENSS_IJLi13EEEEEEENS5_IJNSS_IJLi1ELi2ELi3EEEESX_SY_SZ_NSS_IJLi7EEEENSS_IJLi8ELi9EEEENSS_IJLi10EEEES12_S13_S15_S14_NSS_IJLi15ELi16EEEENSS_IJLi17EEEEEEENSS_IJLi15ELi17ELi16EEEElEENSB_INS5_IJSQ_SO_SO_SQ_SG_EEENS5_IJST_SU_SV_SX_SW_EEENS5_IJNSS_IJLi1ELi2EEEESW_SX_NSS_IJLi5ELi6EEEES18_EEENSS_IJLi5ELi7ELi6EEEElEENSB_INS5_IJSK_SO_SO_EEENS5_IJST_SU_SV_EEENS5_IJS1I_SW_SX_EEENSS_IJLi3ELi4EEEElEELi128ELi128ELi16ELi2ELi4ELi4ELi1ENSS_IJLi8ELi2EEEES1S_NSS_IJLi8ELi1ELi1ELi2EEEENSS_IJLi2ELi1ELi128ELi1EEEENSS_IJLi1ELi2ELi0ELi3EEEES1V_NSS_IJLi4ELi1ELi1ELi2EEEES1V_NSS_IJLi1ELi1ELi1ELi2EEEES1T_S1U_S1V_S1V_S1W_S1V_S1X_NSS_IJLi0ELi1ELi2ELi3ELi4ELi5EEEELi5ELi4EEEDF16_NS5_IJPKDF16_EEEDF16_S8_S8_S9_NSB_INS5_IJSE_SG_SI_SG_SG_SK_SG_SM_SM_SO_SO_SQ_SG_SG_NSP_INS5_IJiNS_17integral_constantIiLi128EEEEEELb0EEENSF_INS23_IiLi2EEEEEEEENS5_IJST_SU_SV_SW_SX_SY_SZ_S10_S11_S12_S13_S14_S15_NSS_IJLi15EEEES1C_NSS_IJLi16EEEEEEENS5_IJS17_SX_SY_SZ_S18_S19_S1A_S12_S13_S15_S14_S1B_S1C_NSS_IJLi18EEEENSS_IJLi19ELi20EEEENSS_IJLi21EEEEEEENSS_IJLi18ELi19ELi20ELi21EEEElEENSB_INS5_IJSQ_SO_SO_SQ_SG_SG_S26_S28_EEENS5_IJST_SU_SV_SX_SW_SY_S18_SZ_EEENS5_IJS1I_SW_SX_S1J_S18_NSS_IJLi8EEEENSS_IJLi9ELi10EEEES12_EEENSS_IJLi8ELi9ELi10ELi11EEEElEENS5_IJNSB_INS5_IJSK_SO_SO_NSP_INS5_IJiS27_NS23_IiLi64EEEEEELb0EEES2S_EEENS5_IJST_SU_SV_SW_SX_EEENS5_IJS1I_SW_SX_NSS_IJLi5ELi6ELi7EEEENSS_IJLi8ELi9ELi10EEEEEEENSS_IJLi5ELi6ELi7ELi8ELi9ELi10EEEElEEEEES2Z_NS_31BlockToCTileMap_M00_N00_M01_N01ILi128ELi128ES1R_Lb0EEENS1_30ComputePtrOffsetOfStridedBatchILi1ELi1ELi1EvEELb0ELb0EEEvPKT0_S37_T1_PT2_T3_T4_T5_iT6_T7_T8_T9_T10_T11_.uses_flat_scratch, 0
	.set _ZN2ck16tensor_operation6device12_GLOBAL__N_137kernel_grouped_conv_fwd_dl_multiple_dINS_32GridwiseGemmDlMultipleD_km_kn_mnILi256EDF16_fNS_5TupleIJDF16_EEEDF16_NS0_12element_wise11PassThroughES8_NS7_7AddReluELNS_25InMemoryDataOperationEnumE0ENS_16TensorDescriptorINS5_IJNS_5EmbedINS5_IJiiiEEESD_Lb0EEENS_11PassThroughIiEENS_3PadIiiiLb0EEESG_SG_NSC_INS5_IJiiEEESJ_Lb0EEESG_NS_23Merge_v2_magic_divisionISJ_EESM_NS_8RightPadIiiLb0EEESO_NS_7UnMergeISJ_Lb0EEESG_EEENS5_IJNS_8SequenceIJLi0EEEENSS_IJLi1EEEENSS_IJLi2EEEENSS_IJLi3EEEENSS_IJLi4EEEENSS_IJLi5EEEENSS_IJLi6EEEENSS_IJLi7ELi9EEEENSS_IJLi8ELi10EEEENSS_IJLi11EEEENSS_IJLi12EEEENSS_IJLi14EEEENSS_IJLi13EEEEEEENS5_IJNSS_IJLi1ELi2ELi3EEEESX_SY_SZ_NSS_IJLi7EEEENSS_IJLi8ELi9EEEENSS_IJLi10EEEES12_S13_S15_S14_NSS_IJLi15ELi16EEEENSS_IJLi17EEEEEEENSS_IJLi15ELi17ELi16EEEElEENSB_INS5_IJSQ_SO_SO_SQ_SG_EEENS5_IJST_SU_SV_SX_SW_EEENS5_IJNSS_IJLi1ELi2EEEESW_SX_NSS_IJLi5ELi6EEEES18_EEENSS_IJLi5ELi7ELi6EEEElEENSB_INS5_IJSK_SO_SO_EEENS5_IJST_SU_SV_EEENS5_IJS1I_SW_SX_EEENSS_IJLi3ELi4EEEElEELi128ELi128ELi16ELi2ELi4ELi4ELi1ENSS_IJLi8ELi2EEEES1S_NSS_IJLi8ELi1ELi1ELi2EEEENSS_IJLi2ELi1ELi128ELi1EEEENSS_IJLi1ELi2ELi0ELi3EEEES1V_NSS_IJLi4ELi1ELi1ELi2EEEES1V_NSS_IJLi1ELi1ELi1ELi2EEEES1T_S1U_S1V_S1V_S1W_S1V_S1X_NSS_IJLi0ELi1ELi2ELi3ELi4ELi5EEEELi5ELi4EEEDF16_NS5_IJPKDF16_EEEDF16_S8_S8_S9_NSB_INS5_IJSE_SG_SI_SG_SG_SK_SG_SM_SM_SO_SO_SQ_SG_SG_NSP_INS5_IJiNS_17integral_constantIiLi128EEEEEELb0EEENSF_INS23_IiLi2EEEEEEEENS5_IJST_SU_SV_SW_SX_SY_SZ_S10_S11_S12_S13_S14_S15_NSS_IJLi15EEEES1C_NSS_IJLi16EEEEEEENS5_IJS17_SX_SY_SZ_S18_S19_S1A_S12_S13_S15_S14_S1B_S1C_NSS_IJLi18EEEENSS_IJLi19ELi20EEEENSS_IJLi21EEEEEEENSS_IJLi18ELi19ELi20ELi21EEEElEENSB_INS5_IJSQ_SO_SO_SQ_SG_SG_S26_S28_EEENS5_IJST_SU_SV_SX_SW_SY_S18_SZ_EEENS5_IJS1I_SW_SX_S1J_S18_NSS_IJLi8EEEENSS_IJLi9ELi10EEEES12_EEENSS_IJLi8ELi9ELi10ELi11EEEElEENS5_IJNSB_INS5_IJSK_SO_SO_NSP_INS5_IJiS27_NS23_IiLi64EEEEEELb0EEES2S_EEENS5_IJST_SU_SV_SW_SX_EEENS5_IJS1I_SW_SX_NSS_IJLi5ELi6ELi7EEEENSS_IJLi8ELi9ELi10EEEEEEENSS_IJLi5ELi6ELi7ELi8ELi9ELi10EEEElEEEEES2Z_NS_31BlockToCTileMap_M00_N00_M01_N01ILi128ELi128ES1R_Lb0EEENS1_30ComputePtrOffsetOfStridedBatchILi1ELi1ELi1EvEELb0ELb0EEEvPKT0_S37_T1_PT2_T3_T4_T5_iT6_T7_T8_T9_T10_T11_.has_dyn_sized_stack, 0
	.set _ZN2ck16tensor_operation6device12_GLOBAL__N_137kernel_grouped_conv_fwd_dl_multiple_dINS_32GridwiseGemmDlMultipleD_km_kn_mnILi256EDF16_fNS_5TupleIJDF16_EEEDF16_NS0_12element_wise11PassThroughES8_NS7_7AddReluELNS_25InMemoryDataOperationEnumE0ENS_16TensorDescriptorINS5_IJNS_5EmbedINS5_IJiiiEEESD_Lb0EEENS_11PassThroughIiEENS_3PadIiiiLb0EEESG_SG_NSC_INS5_IJiiEEESJ_Lb0EEESG_NS_23Merge_v2_magic_divisionISJ_EESM_NS_8RightPadIiiLb0EEESO_NS_7UnMergeISJ_Lb0EEESG_EEENS5_IJNS_8SequenceIJLi0EEEENSS_IJLi1EEEENSS_IJLi2EEEENSS_IJLi3EEEENSS_IJLi4EEEENSS_IJLi5EEEENSS_IJLi6EEEENSS_IJLi7ELi9EEEENSS_IJLi8ELi10EEEENSS_IJLi11EEEENSS_IJLi12EEEENSS_IJLi14EEEENSS_IJLi13EEEEEEENS5_IJNSS_IJLi1ELi2ELi3EEEESX_SY_SZ_NSS_IJLi7EEEENSS_IJLi8ELi9EEEENSS_IJLi10EEEES12_S13_S15_S14_NSS_IJLi15ELi16EEEENSS_IJLi17EEEEEEENSS_IJLi15ELi17ELi16EEEElEENSB_INS5_IJSQ_SO_SO_SQ_SG_EEENS5_IJST_SU_SV_SX_SW_EEENS5_IJNSS_IJLi1ELi2EEEESW_SX_NSS_IJLi5ELi6EEEES18_EEENSS_IJLi5ELi7ELi6EEEElEENSB_INS5_IJSK_SO_SO_EEENS5_IJST_SU_SV_EEENS5_IJS1I_SW_SX_EEENSS_IJLi3ELi4EEEElEELi128ELi128ELi16ELi2ELi4ELi4ELi1ENSS_IJLi8ELi2EEEES1S_NSS_IJLi8ELi1ELi1ELi2EEEENSS_IJLi2ELi1ELi128ELi1EEEENSS_IJLi1ELi2ELi0ELi3EEEES1V_NSS_IJLi4ELi1ELi1ELi2EEEES1V_NSS_IJLi1ELi1ELi1ELi2EEEES1T_S1U_S1V_S1V_S1W_S1V_S1X_NSS_IJLi0ELi1ELi2ELi3ELi4ELi5EEEELi5ELi4EEEDF16_NS5_IJPKDF16_EEEDF16_S8_S8_S9_NSB_INS5_IJSE_SG_SI_SG_SG_SK_SG_SM_SM_SO_SO_SQ_SG_SG_NSP_INS5_IJiNS_17integral_constantIiLi128EEEEEELb0EEENSF_INS23_IiLi2EEEEEEEENS5_IJST_SU_SV_SW_SX_SY_SZ_S10_S11_S12_S13_S14_S15_NSS_IJLi15EEEES1C_NSS_IJLi16EEEEEEENS5_IJS17_SX_SY_SZ_S18_S19_S1A_S12_S13_S15_S14_S1B_S1C_NSS_IJLi18EEEENSS_IJLi19ELi20EEEENSS_IJLi21EEEEEEENSS_IJLi18ELi19ELi20ELi21EEEElEENSB_INS5_IJSQ_SO_SO_SQ_SG_SG_S26_S28_EEENS5_IJST_SU_SV_SX_SW_SY_S18_SZ_EEENS5_IJS1I_SW_SX_S1J_S18_NSS_IJLi8EEEENSS_IJLi9ELi10EEEES12_EEENSS_IJLi8ELi9ELi10ELi11EEEElEENS5_IJNSB_INS5_IJSK_SO_SO_NSP_INS5_IJiS27_NS23_IiLi64EEEEEELb0EEES2S_EEENS5_IJST_SU_SV_SW_SX_EEENS5_IJS1I_SW_SX_NSS_IJLi5ELi6ELi7EEEENSS_IJLi8ELi9ELi10EEEEEEENSS_IJLi5ELi6ELi7ELi8ELi9ELi10EEEElEEEEES2Z_NS_31BlockToCTileMap_M00_N00_M01_N01ILi128ELi128ES1R_Lb0EEENS1_30ComputePtrOffsetOfStridedBatchILi1ELi1ELi1EvEELb0ELb0EEEvPKT0_S37_T1_PT2_T3_T4_T5_iT6_T7_T8_T9_T10_T11_.has_recursion, 0
	.set _ZN2ck16tensor_operation6device12_GLOBAL__N_137kernel_grouped_conv_fwd_dl_multiple_dINS_32GridwiseGemmDlMultipleD_km_kn_mnILi256EDF16_fNS_5TupleIJDF16_EEEDF16_NS0_12element_wise11PassThroughES8_NS7_7AddReluELNS_25InMemoryDataOperationEnumE0ENS_16TensorDescriptorINS5_IJNS_5EmbedINS5_IJiiiEEESD_Lb0EEENS_11PassThroughIiEENS_3PadIiiiLb0EEESG_SG_NSC_INS5_IJiiEEESJ_Lb0EEESG_NS_23Merge_v2_magic_divisionISJ_EESM_NS_8RightPadIiiLb0EEESO_NS_7UnMergeISJ_Lb0EEESG_EEENS5_IJNS_8SequenceIJLi0EEEENSS_IJLi1EEEENSS_IJLi2EEEENSS_IJLi3EEEENSS_IJLi4EEEENSS_IJLi5EEEENSS_IJLi6EEEENSS_IJLi7ELi9EEEENSS_IJLi8ELi10EEEENSS_IJLi11EEEENSS_IJLi12EEEENSS_IJLi14EEEENSS_IJLi13EEEEEEENS5_IJNSS_IJLi1ELi2ELi3EEEESX_SY_SZ_NSS_IJLi7EEEENSS_IJLi8ELi9EEEENSS_IJLi10EEEES12_S13_S15_S14_NSS_IJLi15ELi16EEEENSS_IJLi17EEEEEEENSS_IJLi15ELi17ELi16EEEElEENSB_INS5_IJSQ_SO_SO_SQ_SG_EEENS5_IJST_SU_SV_SX_SW_EEENS5_IJNSS_IJLi1ELi2EEEESW_SX_NSS_IJLi5ELi6EEEES18_EEENSS_IJLi5ELi7ELi6EEEElEENSB_INS5_IJSK_SO_SO_EEENS5_IJST_SU_SV_EEENS5_IJS1I_SW_SX_EEENSS_IJLi3ELi4EEEElEELi128ELi128ELi16ELi2ELi4ELi4ELi1ENSS_IJLi8ELi2EEEES1S_NSS_IJLi8ELi1ELi1ELi2EEEENSS_IJLi2ELi1ELi128ELi1EEEENSS_IJLi1ELi2ELi0ELi3EEEES1V_NSS_IJLi4ELi1ELi1ELi2EEEES1V_NSS_IJLi1ELi1ELi1ELi2EEEES1T_S1U_S1V_S1V_S1W_S1V_S1X_NSS_IJLi0ELi1ELi2ELi3ELi4ELi5EEEELi5ELi4EEEDF16_NS5_IJPKDF16_EEEDF16_S8_S8_S9_NSB_INS5_IJSE_SG_SI_SG_SG_SK_SG_SM_SM_SO_SO_SQ_SG_SG_NSP_INS5_IJiNS_17integral_constantIiLi128EEEEEELb0EEENSF_INS23_IiLi2EEEEEEEENS5_IJST_SU_SV_SW_SX_SY_SZ_S10_S11_S12_S13_S14_S15_NSS_IJLi15EEEES1C_NSS_IJLi16EEEEEEENS5_IJS17_SX_SY_SZ_S18_S19_S1A_S12_S13_S15_S14_S1B_S1C_NSS_IJLi18EEEENSS_IJLi19ELi20EEEENSS_IJLi21EEEEEEENSS_IJLi18ELi19ELi20ELi21EEEElEENSB_INS5_IJSQ_SO_SO_SQ_SG_SG_S26_S28_EEENS5_IJST_SU_SV_SX_SW_SY_S18_SZ_EEENS5_IJS1I_SW_SX_S1J_S18_NSS_IJLi8EEEENSS_IJLi9ELi10EEEES12_EEENSS_IJLi8ELi9ELi10ELi11EEEElEENS5_IJNSB_INS5_IJSK_SO_SO_NSP_INS5_IJiS27_NS23_IiLi64EEEEEELb0EEES2S_EEENS5_IJST_SU_SV_SW_SX_EEENS5_IJS1I_SW_SX_NSS_IJLi5ELi6ELi7EEEENSS_IJLi8ELi9ELi10EEEEEEENSS_IJLi5ELi6ELi7ELi8ELi9ELi10EEEElEEEEES2Z_NS_31BlockToCTileMap_M00_N00_M01_N01ILi128ELi128ES1R_Lb0EEENS1_30ComputePtrOffsetOfStridedBatchILi1ELi1ELi1EvEELb0ELb0EEEvPKT0_S37_T1_PT2_T3_T4_T5_iT6_T7_T8_T9_T10_T11_.has_indirect_call, 0
	.section	.AMDGPU.csdata,"",@progbits
; Kernel info:
; codeLenInByte = 13144
; TotalNumSgprs: 55
; NumVgprs: 120
; ScratchSize: 0
; MemoryBound: 0
; FloatMode: 240
; IeeeMode: 1
; LDSByteSize: 32768 bytes/workgroup (compile time only)
; SGPRBlocks: 12
; VGPRBlocks: 29
; NumSGPRsForWavesPerEU: 102
; NumVGPRsForWavesPerEU: 120
; Occupancy: 2
; WaveLimiterHint : 0
; COMPUTE_PGM_RSRC2:SCRATCH_EN: 0
; COMPUTE_PGM_RSRC2:USER_SGPR: 6
; COMPUTE_PGM_RSRC2:TRAP_HANDLER: 0
; COMPUTE_PGM_RSRC2:TGID_X_EN: 1
; COMPUTE_PGM_RSRC2:TGID_Y_EN: 0
; COMPUTE_PGM_RSRC2:TGID_Z_EN: 0
; COMPUTE_PGM_RSRC2:TIDIG_COMP_CNT: 0
	.section	.text._ZN2ck16tensor_operation6device12_GLOBAL__N_137kernel_grouped_conv_fwd_dl_multiple_dINS_32GridwiseGemmDlMultipleD_km_kn_mnILi256EDF16_fNS_5TupleIJDF16_EEEDF16_NS0_12element_wise11PassThroughES8_NS7_7AddReluELNS_25InMemoryDataOperationEnumE0ENS_16TensorDescriptorINS5_IJNS_5EmbedINS5_IJiiiiEEESD_Lb0EEENS_11PassThroughIiEENS_3PadIiiiLb0EEESI_SG_SG_NSC_INS5_IJiiEEESJ_Lb0EEESK_SG_NS_23Merge_v2_magic_divisionINS5_IJiiiEEEEESN_NS_8RightPadIiiLb0EEESP_NS_7UnMergeISJ_Lb0EEESG_EEENS5_IJNS_8SequenceIJLi0EEEENST_IJLi1EEEENST_IJLi2EEEENST_IJLi3EEEENST_IJLi4EEEENST_IJLi5EEEENST_IJLi6EEEENST_IJLi7EEEENST_IJLi8EEEENST_IJLi9ELi11ELi13EEEENST_IJLi10ELi12ELi14EEEENST_IJLi15EEEENST_IJLi16EEEENST_IJLi18EEEENST_IJLi17EEEEEEENS5_IJNST_IJLi1ELi2ELi3ELi4EEEESZ_S10_S11_S12_NST_IJLi9EEEENST_IJLi10ELi11EEEENST_IJLi12ELi13EEEENST_IJLi14EEEES15_S16_S18_S17_NST_IJLi19ELi20EEEENST_IJLi21EEEEEEENST_IJLi19ELi21ELi20EEEElEENSB_INS5_IJSR_SP_SP_SR_SG_EEENS5_IJSU_SV_SW_SY_SX_EEENS5_IJNST_IJLi1ELi2EEEESX_SY_NST_IJLi5ELi6EEEES11_EEENST_IJLi5ELi7ELi6EEEElEENSB_INS5_IJSK_SP_SP_EEENS5_IJSU_SV_SW_EEENS5_IJS1M_SX_SY_EEENST_IJLi3ELi4EEEElEELi128ELi128ELi16ELi2ELi4ELi4ELi1ENST_IJLi8ELi2EEEES1W_NST_IJLi8ELi1ELi1ELi2EEEENST_IJLi2ELi1ELi128ELi1EEEENST_IJLi1ELi2ELi0ELi3EEEES1Z_NST_IJLi4ELi1ELi1ELi2EEEES1Z_NST_IJLi1ELi1ELi1ELi2EEEES1X_S1Y_S1Z_S1Z_S20_S1Z_S21_NST_IJLi0ELi1ELi2ELi3ELi4ELi5EEEELi5ELi4EEEDF16_NS5_IJPKDF16_EEEDF16_S8_S8_S9_NSB_INS5_IJSE_SG_SI_SI_SG_SG_SK_SK_SG_SN_SN_SP_SP_SR_SG_SG_NSQ_INS5_IJiNS_17integral_constantIiLi128EEEEEELb0EEENSF_INS27_IiLi2EEEEEEEENS5_IJSU_SV_SW_SX_SY_SZ_S10_S11_S12_S13_S14_S15_S16_S17_S18_NST_IJLi19EEEES1G_NST_IJLi20EEEEEEENS5_IJS1A_SZ_S10_S11_S12_S1B_S1C_S1D_S1E_S15_S16_S18_S17_S1F_S1G_NST_IJLi22EEEENST_IJLi23ELi24EEEENST_IJLi25EEEEEEENST_IJLi22ELi23ELi24ELi25EEEElEENSB_INS5_IJSR_SP_SP_SR_SG_SG_S2A_S2C_EEENS5_IJSU_SV_SW_SY_SX_SZ_S11_S10_EEENS5_IJS1M_SX_SY_S1N_S11_S12_NST_IJLi9ELi10EEEENST_IJLi11EEEEEEENST_IJLi8ELi9ELi10ELi11EEEElEENS5_IJNSB_INS5_IJSK_SP_SP_NSQ_INS5_IJiS2B_NS27_IiLi64EEEEEELb0EEES2W_EEENS5_IJSU_SV_SW_SX_SY_EEENS5_IJS1M_SX_SY_NST_IJLi5ELi6ELi7EEEENST_IJLi8ELi9ELi10EEEEEEENST_IJLi5ELi6ELi7ELi8ELi9ELi10EEEElEEEEES33_NS_31BlockToCTileMap_M00_N00_M01_N01ILi128ELi128ES1V_Lb0EEENS1_30ComputePtrOffsetOfStridedBatchILi1ELi1ELi1EvEELb1ELb1EEEvPKT0_S3B_T1_PT2_T3_T4_T5_iT6_T7_T8_T9_T10_T11_,"axG",@progbits,_ZN2ck16tensor_operation6device12_GLOBAL__N_137kernel_grouped_conv_fwd_dl_multiple_dINS_32GridwiseGemmDlMultipleD_km_kn_mnILi256EDF16_fNS_5TupleIJDF16_EEEDF16_NS0_12element_wise11PassThroughES8_NS7_7AddReluELNS_25InMemoryDataOperationEnumE0ENS_16TensorDescriptorINS5_IJNS_5EmbedINS5_IJiiiiEEESD_Lb0EEENS_11PassThroughIiEENS_3PadIiiiLb0EEESI_SG_SG_NSC_INS5_IJiiEEESJ_Lb0EEESK_SG_NS_23Merge_v2_magic_divisionINS5_IJiiiEEEEESN_NS_8RightPadIiiLb0EEESP_NS_7UnMergeISJ_Lb0EEESG_EEENS5_IJNS_8SequenceIJLi0EEEENST_IJLi1EEEENST_IJLi2EEEENST_IJLi3EEEENST_IJLi4EEEENST_IJLi5EEEENST_IJLi6EEEENST_IJLi7EEEENST_IJLi8EEEENST_IJLi9ELi11ELi13EEEENST_IJLi10ELi12ELi14EEEENST_IJLi15EEEENST_IJLi16EEEENST_IJLi18EEEENST_IJLi17EEEEEEENS5_IJNST_IJLi1ELi2ELi3ELi4EEEESZ_S10_S11_S12_NST_IJLi9EEEENST_IJLi10ELi11EEEENST_IJLi12ELi13EEEENST_IJLi14EEEES15_S16_S18_S17_NST_IJLi19ELi20EEEENST_IJLi21EEEEEEENST_IJLi19ELi21ELi20EEEElEENSB_INS5_IJSR_SP_SP_SR_SG_EEENS5_IJSU_SV_SW_SY_SX_EEENS5_IJNST_IJLi1ELi2EEEESX_SY_NST_IJLi5ELi6EEEES11_EEENST_IJLi5ELi7ELi6EEEElEENSB_INS5_IJSK_SP_SP_EEENS5_IJSU_SV_SW_EEENS5_IJS1M_SX_SY_EEENST_IJLi3ELi4EEEElEELi128ELi128ELi16ELi2ELi4ELi4ELi1ENST_IJLi8ELi2EEEES1W_NST_IJLi8ELi1ELi1ELi2EEEENST_IJLi2ELi1ELi128ELi1EEEENST_IJLi1ELi2ELi0ELi3EEEES1Z_NST_IJLi4ELi1ELi1ELi2EEEES1Z_NST_IJLi1ELi1ELi1ELi2EEEES1X_S1Y_S1Z_S1Z_S20_S1Z_S21_NST_IJLi0ELi1ELi2ELi3ELi4ELi5EEEELi5ELi4EEEDF16_NS5_IJPKDF16_EEEDF16_S8_S8_S9_NSB_INS5_IJSE_SG_SI_SI_SG_SG_SK_SK_SG_SN_SN_SP_SP_SR_SG_SG_NSQ_INS5_IJiNS_17integral_constantIiLi128EEEEEELb0EEENSF_INS27_IiLi2EEEEEEEENS5_IJSU_SV_SW_SX_SY_SZ_S10_S11_S12_S13_S14_S15_S16_S17_S18_NST_IJLi19EEEES1G_NST_IJLi20EEEEEEENS5_IJS1A_SZ_S10_S11_S12_S1B_S1C_S1D_S1E_S15_S16_S18_S17_S1F_S1G_NST_IJLi22EEEENST_IJLi23ELi24EEEENST_IJLi25EEEEEEENST_IJLi22ELi23ELi24ELi25EEEElEENSB_INS5_IJSR_SP_SP_SR_SG_SG_S2A_S2C_EEENS5_IJSU_SV_SW_SY_SX_SZ_S11_S10_EEENS5_IJS1M_SX_SY_S1N_S11_S12_NST_IJLi9ELi10EEEENST_IJLi11EEEEEEENST_IJLi8ELi9ELi10ELi11EEEElEENS5_IJNSB_INS5_IJSK_SP_SP_NSQ_INS5_IJiS2B_NS27_IiLi64EEEEEELb0EEES2W_EEENS5_IJSU_SV_SW_SX_SY_EEENS5_IJS1M_SX_SY_NST_IJLi5ELi6ELi7EEEENST_IJLi8ELi9ELi10EEEEEEENST_IJLi5ELi6ELi7ELi8ELi9ELi10EEEElEEEEES33_NS_31BlockToCTileMap_M00_N00_M01_N01ILi128ELi128ES1V_Lb0EEENS1_30ComputePtrOffsetOfStridedBatchILi1ELi1ELi1EvEELb1ELb1EEEvPKT0_S3B_T1_PT2_T3_T4_T5_iT6_T7_T8_T9_T10_T11_,comdat
	.globl	_ZN2ck16tensor_operation6device12_GLOBAL__N_137kernel_grouped_conv_fwd_dl_multiple_dINS_32GridwiseGemmDlMultipleD_km_kn_mnILi256EDF16_fNS_5TupleIJDF16_EEEDF16_NS0_12element_wise11PassThroughES8_NS7_7AddReluELNS_25InMemoryDataOperationEnumE0ENS_16TensorDescriptorINS5_IJNS_5EmbedINS5_IJiiiiEEESD_Lb0EEENS_11PassThroughIiEENS_3PadIiiiLb0EEESI_SG_SG_NSC_INS5_IJiiEEESJ_Lb0EEESK_SG_NS_23Merge_v2_magic_divisionINS5_IJiiiEEEEESN_NS_8RightPadIiiLb0EEESP_NS_7UnMergeISJ_Lb0EEESG_EEENS5_IJNS_8SequenceIJLi0EEEENST_IJLi1EEEENST_IJLi2EEEENST_IJLi3EEEENST_IJLi4EEEENST_IJLi5EEEENST_IJLi6EEEENST_IJLi7EEEENST_IJLi8EEEENST_IJLi9ELi11ELi13EEEENST_IJLi10ELi12ELi14EEEENST_IJLi15EEEENST_IJLi16EEEENST_IJLi18EEEENST_IJLi17EEEEEEENS5_IJNST_IJLi1ELi2ELi3ELi4EEEESZ_S10_S11_S12_NST_IJLi9EEEENST_IJLi10ELi11EEEENST_IJLi12ELi13EEEENST_IJLi14EEEES15_S16_S18_S17_NST_IJLi19ELi20EEEENST_IJLi21EEEEEEENST_IJLi19ELi21ELi20EEEElEENSB_INS5_IJSR_SP_SP_SR_SG_EEENS5_IJSU_SV_SW_SY_SX_EEENS5_IJNST_IJLi1ELi2EEEESX_SY_NST_IJLi5ELi6EEEES11_EEENST_IJLi5ELi7ELi6EEEElEENSB_INS5_IJSK_SP_SP_EEENS5_IJSU_SV_SW_EEENS5_IJS1M_SX_SY_EEENST_IJLi3ELi4EEEElEELi128ELi128ELi16ELi2ELi4ELi4ELi1ENST_IJLi8ELi2EEEES1W_NST_IJLi8ELi1ELi1ELi2EEEENST_IJLi2ELi1ELi128ELi1EEEENST_IJLi1ELi2ELi0ELi3EEEES1Z_NST_IJLi4ELi1ELi1ELi2EEEES1Z_NST_IJLi1ELi1ELi1ELi2EEEES1X_S1Y_S1Z_S1Z_S20_S1Z_S21_NST_IJLi0ELi1ELi2ELi3ELi4ELi5EEEELi5ELi4EEEDF16_NS5_IJPKDF16_EEEDF16_S8_S8_S9_NSB_INS5_IJSE_SG_SI_SI_SG_SG_SK_SK_SG_SN_SN_SP_SP_SR_SG_SG_NSQ_INS5_IJiNS_17integral_constantIiLi128EEEEEELb0EEENSF_INS27_IiLi2EEEEEEEENS5_IJSU_SV_SW_SX_SY_SZ_S10_S11_S12_S13_S14_S15_S16_S17_S18_NST_IJLi19EEEES1G_NST_IJLi20EEEEEEENS5_IJS1A_SZ_S10_S11_S12_S1B_S1C_S1D_S1E_S15_S16_S18_S17_S1F_S1G_NST_IJLi22EEEENST_IJLi23ELi24EEEENST_IJLi25EEEEEEENST_IJLi22ELi23ELi24ELi25EEEElEENSB_INS5_IJSR_SP_SP_SR_SG_SG_S2A_S2C_EEENS5_IJSU_SV_SW_SY_SX_SZ_S11_S10_EEENS5_IJS1M_SX_SY_S1N_S11_S12_NST_IJLi9ELi10EEEENST_IJLi11EEEEEEENST_IJLi8ELi9ELi10ELi11EEEElEENS5_IJNSB_INS5_IJSK_SP_SP_NSQ_INS5_IJiS2B_NS27_IiLi64EEEEEELb0EEES2W_EEENS5_IJSU_SV_SW_SX_SY_EEENS5_IJS1M_SX_SY_NST_IJLi5ELi6ELi7EEEENST_IJLi8ELi9ELi10EEEEEEENST_IJLi5ELi6ELi7ELi8ELi9ELi10EEEElEEEEES33_NS_31BlockToCTileMap_M00_N00_M01_N01ILi128ELi128ES1V_Lb0EEENS1_30ComputePtrOffsetOfStridedBatchILi1ELi1ELi1EvEELb1ELb1EEEvPKT0_S3B_T1_PT2_T3_T4_T5_iT6_T7_T8_T9_T10_T11_ ; -- Begin function _ZN2ck16tensor_operation6device12_GLOBAL__N_137kernel_grouped_conv_fwd_dl_multiple_dINS_32GridwiseGemmDlMultipleD_km_kn_mnILi256EDF16_fNS_5TupleIJDF16_EEEDF16_NS0_12element_wise11PassThroughES8_NS7_7AddReluELNS_25InMemoryDataOperationEnumE0ENS_16TensorDescriptorINS5_IJNS_5EmbedINS5_IJiiiiEEESD_Lb0EEENS_11PassThroughIiEENS_3PadIiiiLb0EEESI_SG_SG_NSC_INS5_IJiiEEESJ_Lb0EEESK_SG_NS_23Merge_v2_magic_divisionINS5_IJiiiEEEEESN_NS_8RightPadIiiLb0EEESP_NS_7UnMergeISJ_Lb0EEESG_EEENS5_IJNS_8SequenceIJLi0EEEENST_IJLi1EEEENST_IJLi2EEEENST_IJLi3EEEENST_IJLi4EEEENST_IJLi5EEEENST_IJLi6EEEENST_IJLi7EEEENST_IJLi8EEEENST_IJLi9ELi11ELi13EEEENST_IJLi10ELi12ELi14EEEENST_IJLi15EEEENST_IJLi16EEEENST_IJLi18EEEENST_IJLi17EEEEEEENS5_IJNST_IJLi1ELi2ELi3ELi4EEEESZ_S10_S11_S12_NST_IJLi9EEEENST_IJLi10ELi11EEEENST_IJLi12ELi13EEEENST_IJLi14EEEES15_S16_S18_S17_NST_IJLi19ELi20EEEENST_IJLi21EEEEEEENST_IJLi19ELi21ELi20EEEElEENSB_INS5_IJSR_SP_SP_SR_SG_EEENS5_IJSU_SV_SW_SY_SX_EEENS5_IJNST_IJLi1ELi2EEEESX_SY_NST_IJLi5ELi6EEEES11_EEENST_IJLi5ELi7ELi6EEEElEENSB_INS5_IJSK_SP_SP_EEENS5_IJSU_SV_SW_EEENS5_IJS1M_SX_SY_EEENST_IJLi3ELi4EEEElEELi128ELi128ELi16ELi2ELi4ELi4ELi1ENST_IJLi8ELi2EEEES1W_NST_IJLi8ELi1ELi1ELi2EEEENST_IJLi2ELi1ELi128ELi1EEEENST_IJLi1ELi2ELi0ELi3EEEES1Z_NST_IJLi4ELi1ELi1ELi2EEEES1Z_NST_IJLi1ELi1ELi1ELi2EEEES1X_S1Y_S1Z_S1Z_S20_S1Z_S21_NST_IJLi0ELi1ELi2ELi3ELi4ELi5EEEELi5ELi4EEEDF16_NS5_IJPKDF16_EEEDF16_S8_S8_S9_NSB_INS5_IJSE_SG_SI_SI_SG_SG_SK_SK_SG_SN_SN_SP_SP_SR_SG_SG_NSQ_INS5_IJiNS_17integral_constantIiLi128EEEEEELb0EEENSF_INS27_IiLi2EEEEEEEENS5_IJSU_SV_SW_SX_SY_SZ_S10_S11_S12_S13_S14_S15_S16_S17_S18_NST_IJLi19EEEES1G_NST_IJLi20EEEEEEENS5_IJS1A_SZ_S10_S11_S12_S1B_S1C_S1D_S1E_S15_S16_S18_S17_S1F_S1G_NST_IJLi22EEEENST_IJLi23ELi24EEEENST_IJLi25EEEEEEENST_IJLi22ELi23ELi24ELi25EEEElEENSB_INS5_IJSR_SP_SP_SR_SG_SG_S2A_S2C_EEENS5_IJSU_SV_SW_SY_SX_SZ_S11_S10_EEENS5_IJS1M_SX_SY_S1N_S11_S12_NST_IJLi9ELi10EEEENST_IJLi11EEEEEEENST_IJLi8ELi9ELi10ELi11EEEElEENS5_IJNSB_INS5_IJSK_SP_SP_NSQ_INS5_IJiS2B_NS27_IiLi64EEEEEELb0EEES2W_EEENS5_IJSU_SV_SW_SX_SY_EEENS5_IJS1M_SX_SY_NST_IJLi5ELi6ELi7EEEENST_IJLi8ELi9ELi10EEEEEEENST_IJLi5ELi6ELi7ELi8ELi9ELi10EEEElEEEEES33_NS_31BlockToCTileMap_M00_N00_M01_N01ILi128ELi128ES1V_Lb0EEENS1_30ComputePtrOffsetOfStridedBatchILi1ELi1ELi1EvEELb1ELb1EEEvPKT0_S3B_T1_PT2_T3_T4_T5_iT6_T7_T8_T9_T10_T11_
	.p2align	8
	.type	_ZN2ck16tensor_operation6device12_GLOBAL__N_137kernel_grouped_conv_fwd_dl_multiple_dINS_32GridwiseGemmDlMultipleD_km_kn_mnILi256EDF16_fNS_5TupleIJDF16_EEEDF16_NS0_12element_wise11PassThroughES8_NS7_7AddReluELNS_25InMemoryDataOperationEnumE0ENS_16TensorDescriptorINS5_IJNS_5EmbedINS5_IJiiiiEEESD_Lb0EEENS_11PassThroughIiEENS_3PadIiiiLb0EEESI_SG_SG_NSC_INS5_IJiiEEESJ_Lb0EEESK_SG_NS_23Merge_v2_magic_divisionINS5_IJiiiEEEEESN_NS_8RightPadIiiLb0EEESP_NS_7UnMergeISJ_Lb0EEESG_EEENS5_IJNS_8SequenceIJLi0EEEENST_IJLi1EEEENST_IJLi2EEEENST_IJLi3EEEENST_IJLi4EEEENST_IJLi5EEEENST_IJLi6EEEENST_IJLi7EEEENST_IJLi8EEEENST_IJLi9ELi11ELi13EEEENST_IJLi10ELi12ELi14EEEENST_IJLi15EEEENST_IJLi16EEEENST_IJLi18EEEENST_IJLi17EEEEEEENS5_IJNST_IJLi1ELi2ELi3ELi4EEEESZ_S10_S11_S12_NST_IJLi9EEEENST_IJLi10ELi11EEEENST_IJLi12ELi13EEEENST_IJLi14EEEES15_S16_S18_S17_NST_IJLi19ELi20EEEENST_IJLi21EEEEEEENST_IJLi19ELi21ELi20EEEElEENSB_INS5_IJSR_SP_SP_SR_SG_EEENS5_IJSU_SV_SW_SY_SX_EEENS5_IJNST_IJLi1ELi2EEEESX_SY_NST_IJLi5ELi6EEEES11_EEENST_IJLi5ELi7ELi6EEEElEENSB_INS5_IJSK_SP_SP_EEENS5_IJSU_SV_SW_EEENS5_IJS1M_SX_SY_EEENST_IJLi3ELi4EEEElEELi128ELi128ELi16ELi2ELi4ELi4ELi1ENST_IJLi8ELi2EEEES1W_NST_IJLi8ELi1ELi1ELi2EEEENST_IJLi2ELi1ELi128ELi1EEEENST_IJLi1ELi2ELi0ELi3EEEES1Z_NST_IJLi4ELi1ELi1ELi2EEEES1Z_NST_IJLi1ELi1ELi1ELi2EEEES1X_S1Y_S1Z_S1Z_S20_S1Z_S21_NST_IJLi0ELi1ELi2ELi3ELi4ELi5EEEELi5ELi4EEEDF16_NS5_IJPKDF16_EEEDF16_S8_S8_S9_NSB_INS5_IJSE_SG_SI_SI_SG_SG_SK_SK_SG_SN_SN_SP_SP_SR_SG_SG_NSQ_INS5_IJiNS_17integral_constantIiLi128EEEEEELb0EEENSF_INS27_IiLi2EEEEEEEENS5_IJSU_SV_SW_SX_SY_SZ_S10_S11_S12_S13_S14_S15_S16_S17_S18_NST_IJLi19EEEES1G_NST_IJLi20EEEEEEENS5_IJS1A_SZ_S10_S11_S12_S1B_S1C_S1D_S1E_S15_S16_S18_S17_S1F_S1G_NST_IJLi22EEEENST_IJLi23ELi24EEEENST_IJLi25EEEEEEENST_IJLi22ELi23ELi24ELi25EEEElEENSB_INS5_IJSR_SP_SP_SR_SG_SG_S2A_S2C_EEENS5_IJSU_SV_SW_SY_SX_SZ_S11_S10_EEENS5_IJS1M_SX_SY_S1N_S11_S12_NST_IJLi9ELi10EEEENST_IJLi11EEEEEEENST_IJLi8ELi9ELi10ELi11EEEElEENS5_IJNSB_INS5_IJSK_SP_SP_NSQ_INS5_IJiS2B_NS27_IiLi64EEEEEELb0EEES2W_EEENS5_IJSU_SV_SW_SX_SY_EEENS5_IJS1M_SX_SY_NST_IJLi5ELi6ELi7EEEENST_IJLi8ELi9ELi10EEEEEEENST_IJLi5ELi6ELi7ELi8ELi9ELi10EEEElEEEEES33_NS_31BlockToCTileMap_M00_N00_M01_N01ILi128ELi128ES1V_Lb0EEENS1_30ComputePtrOffsetOfStridedBatchILi1ELi1ELi1EvEELb1ELb1EEEvPKT0_S3B_T1_PT2_T3_T4_T5_iT6_T7_T8_T9_T10_T11_,@function
_ZN2ck16tensor_operation6device12_GLOBAL__N_137kernel_grouped_conv_fwd_dl_multiple_dINS_32GridwiseGemmDlMultipleD_km_kn_mnILi256EDF16_fNS_5TupleIJDF16_EEEDF16_NS0_12element_wise11PassThroughES8_NS7_7AddReluELNS_25InMemoryDataOperationEnumE0ENS_16TensorDescriptorINS5_IJNS_5EmbedINS5_IJiiiiEEESD_Lb0EEENS_11PassThroughIiEENS_3PadIiiiLb0EEESI_SG_SG_NSC_INS5_IJiiEEESJ_Lb0EEESK_SG_NS_23Merge_v2_magic_divisionINS5_IJiiiEEEEESN_NS_8RightPadIiiLb0EEESP_NS_7UnMergeISJ_Lb0EEESG_EEENS5_IJNS_8SequenceIJLi0EEEENST_IJLi1EEEENST_IJLi2EEEENST_IJLi3EEEENST_IJLi4EEEENST_IJLi5EEEENST_IJLi6EEEENST_IJLi7EEEENST_IJLi8EEEENST_IJLi9ELi11ELi13EEEENST_IJLi10ELi12ELi14EEEENST_IJLi15EEEENST_IJLi16EEEENST_IJLi18EEEENST_IJLi17EEEEEEENS5_IJNST_IJLi1ELi2ELi3ELi4EEEESZ_S10_S11_S12_NST_IJLi9EEEENST_IJLi10ELi11EEEENST_IJLi12ELi13EEEENST_IJLi14EEEES15_S16_S18_S17_NST_IJLi19ELi20EEEENST_IJLi21EEEEEEENST_IJLi19ELi21ELi20EEEElEENSB_INS5_IJSR_SP_SP_SR_SG_EEENS5_IJSU_SV_SW_SY_SX_EEENS5_IJNST_IJLi1ELi2EEEESX_SY_NST_IJLi5ELi6EEEES11_EEENST_IJLi5ELi7ELi6EEEElEENSB_INS5_IJSK_SP_SP_EEENS5_IJSU_SV_SW_EEENS5_IJS1M_SX_SY_EEENST_IJLi3ELi4EEEElEELi128ELi128ELi16ELi2ELi4ELi4ELi1ENST_IJLi8ELi2EEEES1W_NST_IJLi8ELi1ELi1ELi2EEEENST_IJLi2ELi1ELi128ELi1EEEENST_IJLi1ELi2ELi0ELi3EEEES1Z_NST_IJLi4ELi1ELi1ELi2EEEES1Z_NST_IJLi1ELi1ELi1ELi2EEEES1X_S1Y_S1Z_S1Z_S20_S1Z_S21_NST_IJLi0ELi1ELi2ELi3ELi4ELi5EEEELi5ELi4EEEDF16_NS5_IJPKDF16_EEEDF16_S8_S8_S9_NSB_INS5_IJSE_SG_SI_SI_SG_SG_SK_SK_SG_SN_SN_SP_SP_SR_SG_SG_NSQ_INS5_IJiNS_17integral_constantIiLi128EEEEEELb0EEENSF_INS27_IiLi2EEEEEEEENS5_IJSU_SV_SW_SX_SY_SZ_S10_S11_S12_S13_S14_S15_S16_S17_S18_NST_IJLi19EEEES1G_NST_IJLi20EEEEEEENS5_IJS1A_SZ_S10_S11_S12_S1B_S1C_S1D_S1E_S15_S16_S18_S17_S1F_S1G_NST_IJLi22EEEENST_IJLi23ELi24EEEENST_IJLi25EEEEEEENST_IJLi22ELi23ELi24ELi25EEEElEENSB_INS5_IJSR_SP_SP_SR_SG_SG_S2A_S2C_EEENS5_IJSU_SV_SW_SY_SX_SZ_S11_S10_EEENS5_IJS1M_SX_SY_S1N_S11_S12_NST_IJLi9ELi10EEEENST_IJLi11EEEEEEENST_IJLi8ELi9ELi10ELi11EEEElEENS5_IJNSB_INS5_IJSK_SP_SP_NSQ_INS5_IJiS2B_NS27_IiLi64EEEEEELb0EEES2W_EEENS5_IJSU_SV_SW_SX_SY_EEENS5_IJS1M_SX_SY_NST_IJLi5ELi6ELi7EEEENST_IJLi8ELi9ELi10EEEEEEENST_IJLi5ELi6ELi7ELi8ELi9ELi10EEEElEEEEES33_NS_31BlockToCTileMap_M00_N00_M01_N01ILi128ELi128ES1V_Lb0EEENS1_30ComputePtrOffsetOfStridedBatchILi1ELi1ELi1EvEELb1ELb1EEEvPKT0_S3B_T1_PT2_T3_T4_T5_iT6_T7_T8_T9_T10_T11_: ; @_ZN2ck16tensor_operation6device12_GLOBAL__N_137kernel_grouped_conv_fwd_dl_multiple_dINS_32GridwiseGemmDlMultipleD_km_kn_mnILi256EDF16_fNS_5TupleIJDF16_EEEDF16_NS0_12element_wise11PassThroughES8_NS7_7AddReluELNS_25InMemoryDataOperationEnumE0ENS_16TensorDescriptorINS5_IJNS_5EmbedINS5_IJiiiiEEESD_Lb0EEENS_11PassThroughIiEENS_3PadIiiiLb0EEESI_SG_SG_NSC_INS5_IJiiEEESJ_Lb0EEESK_SG_NS_23Merge_v2_magic_divisionINS5_IJiiiEEEEESN_NS_8RightPadIiiLb0EEESP_NS_7UnMergeISJ_Lb0EEESG_EEENS5_IJNS_8SequenceIJLi0EEEENST_IJLi1EEEENST_IJLi2EEEENST_IJLi3EEEENST_IJLi4EEEENST_IJLi5EEEENST_IJLi6EEEENST_IJLi7EEEENST_IJLi8EEEENST_IJLi9ELi11ELi13EEEENST_IJLi10ELi12ELi14EEEENST_IJLi15EEEENST_IJLi16EEEENST_IJLi18EEEENST_IJLi17EEEEEEENS5_IJNST_IJLi1ELi2ELi3ELi4EEEESZ_S10_S11_S12_NST_IJLi9EEEENST_IJLi10ELi11EEEENST_IJLi12ELi13EEEENST_IJLi14EEEES15_S16_S18_S17_NST_IJLi19ELi20EEEENST_IJLi21EEEEEEENST_IJLi19ELi21ELi20EEEElEENSB_INS5_IJSR_SP_SP_SR_SG_EEENS5_IJSU_SV_SW_SY_SX_EEENS5_IJNST_IJLi1ELi2EEEESX_SY_NST_IJLi5ELi6EEEES11_EEENST_IJLi5ELi7ELi6EEEElEENSB_INS5_IJSK_SP_SP_EEENS5_IJSU_SV_SW_EEENS5_IJS1M_SX_SY_EEENST_IJLi3ELi4EEEElEELi128ELi128ELi16ELi2ELi4ELi4ELi1ENST_IJLi8ELi2EEEES1W_NST_IJLi8ELi1ELi1ELi2EEEENST_IJLi2ELi1ELi128ELi1EEEENST_IJLi1ELi2ELi0ELi3EEEES1Z_NST_IJLi4ELi1ELi1ELi2EEEES1Z_NST_IJLi1ELi1ELi1ELi2EEEES1X_S1Y_S1Z_S1Z_S20_S1Z_S21_NST_IJLi0ELi1ELi2ELi3ELi4ELi5EEEELi5ELi4EEEDF16_NS5_IJPKDF16_EEEDF16_S8_S8_S9_NSB_INS5_IJSE_SG_SI_SI_SG_SG_SK_SK_SG_SN_SN_SP_SP_SR_SG_SG_NSQ_INS5_IJiNS_17integral_constantIiLi128EEEEEELb0EEENSF_INS27_IiLi2EEEEEEEENS5_IJSU_SV_SW_SX_SY_SZ_S10_S11_S12_S13_S14_S15_S16_S17_S18_NST_IJLi19EEEES1G_NST_IJLi20EEEEEEENS5_IJS1A_SZ_S10_S11_S12_S1B_S1C_S1D_S1E_S15_S16_S18_S17_S1F_S1G_NST_IJLi22EEEENST_IJLi23ELi24EEEENST_IJLi25EEEEEEENST_IJLi22ELi23ELi24ELi25EEEElEENSB_INS5_IJSR_SP_SP_SR_SG_SG_S2A_S2C_EEENS5_IJSU_SV_SW_SY_SX_SZ_S11_S10_EEENS5_IJS1M_SX_SY_S1N_S11_S12_NST_IJLi9ELi10EEEENST_IJLi11EEEEEEENST_IJLi8ELi9ELi10ELi11EEEElEENS5_IJNSB_INS5_IJSK_SP_SP_NSQ_INS5_IJiS2B_NS27_IiLi64EEEEEELb0EEES2W_EEENS5_IJSU_SV_SW_SX_SY_EEENS5_IJS1M_SX_SY_NST_IJLi5ELi6ELi7EEEENST_IJLi8ELi9ELi10EEEEEEENST_IJLi5ELi6ELi7ELi8ELi9ELi10EEEElEEEEES33_NS_31BlockToCTileMap_M00_N00_M01_N01ILi128ELi128ES1V_Lb0EEENS1_30ComputePtrOffsetOfStridedBatchILi1ELi1ELi1EvEELb1ELb1EEEvPKT0_S3B_T1_PT2_T3_T4_T5_iT6_T7_T8_T9_T10_T11_
; %bb.0:
	s_mov_b64 s[78:79], s[2:3]
	s_mov_b64 s[76:77], s[0:1]
	s_add_u32 s76, s76, s7
	s_addc_u32 s77, s77, 0
	s_load_dwordx4 s[0:3], s[4:5], 0x0
	s_load_dwordx2 s[64:65], s[4:5], 0x18
	s_load_dword s8, s[4:5], 0x24
	s_load_dwordx4 s[16:19], s[4:5], 0x38
	s_load_dword s68, s[4:5], 0x50
	s_load_dwordx4 s[28:31], s[4:5], 0x4c
	;; [unrolled: 2-line block ×3, first 2 shown]
	s_load_dwordx2 s[54:55], s[4:5], 0x74
	s_load_dwordx2 s[56:57], s[4:5], 0x84
	;; [unrolled: 1-line block ×8, first 2 shown]
	s_waitcnt lgkmcnt(0)
	s_abs_i32 s9, s8
	v_cvt_f32_u32_e32 v1, s9
	s_load_dword s70, s[4:5], 0x100
	s_load_dword s74, s[4:5], 0x10c
	;; [unrolled: 1-line block ×7, first 2 shown]
	s_sub_i32 s11, 0, s9
	s_load_dword s73, s[4:5], 0x160
	s_load_dword s7, s[4:5], 0x188
	s_load_dwordx2 s[52:53], s[4:5], 0x198
	s_load_dword s37, s[4:5], 0x1a4
	s_load_dword s66, s[4:5], 0x1b0
	v_rcp_iflag_f32_e32 v1, v1
	s_load_dword s29, s[4:5], 0x244
	s_load_dword s31, s[4:5], 0x254
	s_load_dwordx4 s[40:43], s[4:5], 0x260
	s_waitcnt lgkmcnt(0)
	s_xor_b32 s8, s10, s8
	s_abs_i32 s10, s10
	v_mul_f32_e32 v1, 0x4f7ffffe, v1
	v_cvt_u32_f32_e32 v1, v1
	s_ashr_i32 s8, s8, 31
	v_lshrrev_b32_e32 v12, 1, v0
	v_lshlrev_b32_e32 v29, 1, v0
	v_readfirstlane_b32 s12, v1
	s_mul_i32 s11, s11, s12
	s_mul_hi_u32 s11, s12, s11
	s_add_i32 s12, s12, s11
	s_mul_hi_u32 s11, s10, s12
	s_mul_i32 s12, s11, s9
	s_sub_i32 s10, s10, s12
	s_add_i32 s12, s11, 1
	s_sub_i32 s13, s10, s9
	s_cmp_ge_u32 s10, s9
	s_cselect_b32 s11, s12, s11
	s_cselect_b32 s10, s13, s10
	s_add_i32 s12, s11, 1
	s_cmp_ge_u32 s10, s9
	s_cselect_b32 s9, s12, s11
	s_xor_b32 s9, s9, s8
	s_sub_i32 s20, s9, s8
	s_abs_i32 s24, s20
	v_cvt_f32_u32_e32 v1, s24
	s_sub_i32 s39, 0, s24
	s_abs_i32 s33, s6
	s_xor_b32 s20, s6, s20
	v_rcp_iflag_f32_e32 v1, v1
	s_ashr_i32 s20, s20, 31
	s_load_dwordx4 s[48:51], s[4:5], 0x274
	s_load_dwordx4 s[44:47], s[4:5], 0x288
	s_load_dwordx8 s[8:15], s[4:5], 0x2a0
	v_and_b32_e32 v30, 0x1f8, v29
	v_mul_f32_e32 v1, 0x4f7ffffe, v1
	v_cvt_u32_f32_e32 v1, v1
	v_mov_b32_e32 v57, 0
	v_mov_b32_e32 v53, 0
	;; [unrolled: 1-line block ×3, first 2 shown]
	v_readfirstlane_b32 s71, v1
	s_mul_i32 s39, s39, s71
	s_mul_hi_u32 s39, s71, s39
	s_add_i32 s71, s71, s39
	s_mul_hi_u32 s39, s33, s71
	s_mul_i32 s71, s39, s24
	s_sub_i32 s33, s33, s71
	s_add_i32 s71, s39, 1
	s_sub_i32 s72, s33, s24
	s_cmp_ge_u32 s33, s24
	s_cselect_b32 s39, s71, s39
	s_cselect_b32 s33, s72, s33
	s_add_i32 s71, s39, 1
	s_cmp_ge_u32 s33, s24
	s_cselect_b32 s24, s71, s39
	s_xor_b32 s24, s24, s20
	s_sub_i32 s71, s24, s20
	s_ashr_i32 s72, s71, 31
	s_waitcnt lgkmcnt(0)
	s_mul_i32 s20, s8, s72
	s_mul_hi_u32 s24, s8, s71
	s_add_i32 s20, s24, s20
	s_mul_i32 s9, s9, s71
	s_add_i32 s9, s20, s9
	s_mul_i32 s20, s10, s72
	s_mul_hi_u32 s24, s10, s71
	s_mul_i32 s8, s8, s71
	s_add_i32 s20, s24, s20
	s_mul_i32 s11, s11, s71
	s_add_i32 s11, s20, s11
	s_lshl_b64 s[8:9], s[8:9], 1
	s_mul_i32 s10, s10, s71
	s_add_u32 s20, s0, s8
	s_addc_u32 s8, s1, s9
	s_lshl_b64 s[0:1], s[10:11], 1
	s_add_u32 s24, s2, s0
	s_mul_hi_u32 s0, s51, s6
	s_addc_u32 s2, s3, s1
	s_add_i32 s0, s6, s0
	s_lshr_b32 s0, s0, s47
	s_mul_hi_u32 s3, s0, s50
	s_add_i32 s3, s0, s3
	s_lshr_b32 s3, s3, s46
	s_mul_i32 s9, s3, s42
	s_mul_i32 s1, s0, s43
	s_sub_i32 s0, s0, s9
	s_mul_hi_u32 s9, s3, s49
	v_lshlrev_b32_e32 v1, 3, v0
	s_add_i32 s9, s3, s9
	v_and_b32_e32 v31, 8, v1
	s_lshr_b32 s9, s9, s45
	v_mul_lo_u32 v11, s70, v31
	s_mul_hi_u32 s10, s9, s48
	s_add_i32 s10, s9, s10
	s_lshr_b32 s10, s10, s44
	s_mul_i32 s10, s10, s40
	v_mul_hi_u32 v1, v11, s63
	s_sub_i32 s10, s9, s10
	s_mul_i32 s10, s10, s29
	s_add_i32 s29, s0, s10
	v_lshl_or_b32 v25, s29, 7, v12
	v_add_u32_e32 v1, v11, v1
	v_lshrrev_b32_e32 v1, s61, v1
	v_mul_hi_u32 v3, v25, s35
	v_mul_hi_u32 v2, v1, s62
	v_mul_lo_u32 v5, v1, s59
	s_sub_i32 s6, s6, s1
	v_add_u32_e32 v3, v25, v3
	v_add_u32_e32 v2, v1, v2
	v_lshrrev_b32_e32 v3, s27, v3
	v_mul_hi_u32 v4, v3, s34
	v_lshrrev_b32_e32 v9, s60, v2
	v_mul_lo_u32 v2, v9, s58
	v_mul_lo_u32 v6, v3, s23
	v_add_u32_e32 v4, v3, v4
	v_lshrrev_b32_e32 v7, s26, v4
	v_sub_u32_e32 v10, v1, v2
	v_mul_lo_u32 v4, v7, s22
	v_mul_lo_u32 v1, v10, s56
	;; [unrolled: 1-line block ×3, first 2 shown]
	v_sub_u32_e32 v6, v25, v6
	v_sub_u32_e32 v8, v3, v4
	;; [unrolled: 1-line block ×3, first 2 shown]
	v_mad_u64_u32 v[3:4], s[0:1], v6, s57, v[1:2]
	v_or_b32_e32 v5, 4, v31
	v_mul_lo_u32 v6, v7, s16
	v_mad_u64_u32 v[1:2], s[0:1], v8, s55, v[2:3]
	v_mul_lo_u32 v36, s70, v5
	v_subrev_u32_e32 v4, s67, v3
	v_subrev_u32_e32 v2, s68, v1
	v_mul_lo_u32 v7, v2, s17
	v_mul_lo_u32 v2, v13, s19
	s_mul_i32 s9, s9, s41
	s_lshl_b32 s22, s21, 1
	s_and_b32 s21, s8, 0xffff
	v_mad_u64_u32 v[4:5], s[0:1], v4, s18, v[2:3]
	v_mul_hi_u32 v2, v36, s63
	s_sub_i32 s0, s3, s9
	v_add3_u32 v4, v4, v6, v7
	s_mul_i32 s0, s0, s31
	v_add_u32_e32 v2, v36, v2
	v_lshrrev_b32_e32 v2, s61, v2
	v_mul_hi_u32 v5, v2, s62
	v_mul_lo_u32 v14, v2, s59
	s_mov_b32 s23, 0x20000
	v_lshlrev_b32_e32 v6, 1, v4
	v_add_u32_e32 v5, v2, v5
	v_lshrrev_b32_e32 v33, s60, v5
	v_mul_lo_u32 v15, v33, s58
	v_sub_u32_e32 v37, v36, v14
	v_sub_u32_e32 v13, v37, v13
	;; [unrolled: 1-line block ×5, first 2 shown]
	v_mul_lo_u32 v26, v2, s56
	v_mul_lo_u32 v27, v9, s54
	;; [unrolled: 1-line block ×3, first 2 shown]
	buffer_load_dwordx4 v[5:8], v6, s[20:23], 0 offen
	s_add_i32 s31, s6, s0
	v_mul_lo_u32 v13, v26, s18
	v_mad_u64_u32 v[9:10], s[0:1], v27, s17, v[2:3]
	v_lshl_or_b32 v2, s31, 7, v12
	v_mul_lo_u32 v10, s73, v31
	v_mul_lo_u32 v35, v2, s25
	v_add3_u32 v4, v9, v13, v4
	v_lshlrev_b32_e32 v9, 1, v4
	buffer_load_dwordx4 v[13:16], v9, s[20:23], 0 offen
	v_add_u32_e32 v9, v35, v10
	s_and_b32 s25, s2, 0xffff
	s_lshl_b32 s10, s7, 1
	s_mov_b32 s8, s24
	s_mov_b32 s9, s25
	;; [unrolled: 1-line block ×3, first 2 shown]
	v_lshlrev_b32_e32 v17, 1, v9
	buffer_load_dwordx4 v[17:20], v17, s[8:11], 0 offen
	s_lshl_b32 s44, s73, 2
	v_add_lshl_u32 v9, v9, s44, 1
	buffer_load_dwordx4 v[21:24], v9, s[8:11], 0 offen
	s_sub_i32 s36, s36, s38
	s_load_dword s2, s[4:5], 0xe4
	s_load_dword s11, s[4:5], 0xf0
	s_load_dwordx2 s[40:41], s[4:5], 0x228
	s_load_dwordx2 s[42:43], s[4:5], 0x1d8
	;; [unrolled: 1-line block ×3, first 2 shown]
	s_load_dword s33, s[4:5], 0x1f4
	s_load_dword s39, s[4:5], 0x200
	s_waitcnt lgkmcnt(0)
	v_cmp_gt_i32_e64 s[0:1], s11, v11
	v_cmp_gt_i32_e64 s[6:7], s36, v3
	v_cmp_gt_i32_e32 vcc, s2, v25
	v_cmp_le_i32_e64 s[2:3], s67, v3
	s_and_b64 s[0:1], s[6:7], s[0:1]
	s_sub_i32 s30, s28, s30
	v_lshrrev_b32_e32 v9, 5, v0
	s_and_b64 s[6:7], s[0:1], s[2:3]
	v_cmp_le_i32_e64 s[0:1], s68, v1
	v_cmp_gt_i32_e64 s[2:3], s30, v1
	v_lshlrev_b32_e32 v28, 6, v9
	s_and_b64 s[0:1], s[0:1], s[2:3]
	v_sub_u32_e32 v28, v30, v28
	v_lshlrev_b32_e32 v0, 2, v0
	s_and_b64 s[0:1], s[6:7], s[0:1]
	v_and_or_b32 v30, v0, 4, v28
	v_lshlrev_b32_e32 v0, 3, v9
	s_and_b64 s[0:1], vcc, s[0:1]
	v_add_u32_e32 v28, v3, v26
	v_and_or_b32 v29, v29, 4, v0
	v_cmp_gt_i32_e64 s[6:7], s36, v28
	v_add_u32_e32 v32, v1, v27
	v_cmp_le_i32_e64 s[2:3], s67, v28
	v_add_u32_e32 v9, s44, v10
	buffer_store_dword v9, off, s[76:79], 0 offset:4 ; 4-byte Folded Spill
	buffer_store_dword v36, off, s[76:79], 0 offset:8 ; 4-byte Folded Spill
	s_mov_b32 s43, 0
	s_mov_b32 s41, s63
	;; [unrolled: 1-line block ×4, first 2 shown]
	s_sub_i32 s16, s74, 32
	s_mul_i32 s45, s70, 12
	s_mul_i32 s10, s73, 12
	s_lshl_b32 s38, s70, 2
	s_lshl_b32 s28, s73, 5
	;; [unrolled: 1-line block ×4, first 2 shown]
	s_sub_i32 s48, 0, s59
	v_mov_b32_e32 v55, 0
	v_mov_b32_e32 v56, 0
	;; [unrolled: 1-line block ×18, first 2 shown]
	s_waitcnt vmcnt(5)
	v_cndmask_b32_e64 v0, 0, v8, s[0:1]
	v_cndmask_b32_e64 v7, 0, v7, s[0:1]
	;; [unrolled: 1-line block ×4, first 2 shown]
	v_cmp_gt_i32_e64 s[0:1], s11, v36
	s_and_b64 s[0:1], s[6:7], s[0:1]
	s_and_b64 s[6:7], s[0:1], s[2:3]
	v_cmp_le_i32_e64 s[0:1], s68, v32
	v_cmp_gt_i32_e64 s[2:3], s30, v32
	s_and_b64 s[0:1], s[0:1], s[2:3]
	s_and_b64 s[0:1], s[6:7], s[0:1]
	s_and_b64 s[0:1], vcc, s[0:1]
	s_waitcnt vmcnt(4)
	v_cndmask_b32_e64 v1, 0, v16, s[0:1]
	v_cndmask_b32_e64 v3, 0, v15, s[0:1]
	;; [unrolled: 1-line block ×4, first 2 shown]
	v_cmp_gt_i32_e64 s[2:3], s69, v10
	v_cmp_gt_i32_e64 s[0:1], s75, v2
	s_and_b64 s[2:3], s[2:3], s[0:1]
	s_waitcnt vmcnt(3)
	v_cndmask_b32_e64 v2, 0, v20, s[2:3]
	v_cndmask_b32_e64 v13, 0, v19, s[2:3]
	;; [unrolled: 1-line block ×4, first 2 shown]
	v_cmp_gt_i32_e64 s[2:3], s69, v9
	v_lshlrev_b32_e32 v9, 2, v12
	s_and_b64 s[2:3], s[2:3], s[0:1]
	v_lshl_or_b32 v9, v31, 9, v9
	s_waitcnt vmcnt(2)
	v_cndmask_b32_e64 v10, 0, v24, s[2:3]
	v_cndmask_b32_e64 v16, 0, v23, s[2:3]
	v_cndmask_b32_e64 v17, 0, v22, s[2:3]
	v_cndmask_b32_e64 v18, 0, v21, s[2:3]
	ds_write2st64_b32 v9, v5, v6 offset1:2
	ds_write2st64_b32 v9, v7, v0 offset0:4 offset1:6
	ds_write2st64_b32 v9, v11, v8 offset0:8 offset1:10
	;; [unrolled: 1-line block ×7, first 2 shown]
	v_or_b32_e32 v0, 36, v31
	v_mul_lo_u32 v5, s73, v0
	v_or_b32_e32 v1, 32, v31
	v_mul_lo_u32 v6, s73, v1
	;; [unrolled: 2-line block ×4, first 2 shown]
	buffer_store_dword v5, off, s[76:79], 0 offset:12 ; 4-byte Folded Spill
	v_lshlrev_b32_e32 v5, 1, v5
	v_mul_lo_u32 v3, s70, v3
	v_mul_lo_u32 v0, s70, v0
	buffer_store_dword v29, off, s[76:79], 0 offset:148 ; 4-byte Folded Spill
	buffer_store_dword v30, off, s[76:79], 0 offset:144 ; 4-byte Folded Spill
	;; [unrolled: 1-line block ×5, first 2 shown]
	v_lshlrev_b32_e32 v5, 1, v6
	v_mul_lo_u32 v1, s70, v1
	v_mul_lo_u32 v2, s70, v2
	buffer_store_dword v5, off, s[76:79], 0 offset:112 ; 4-byte Folded Spill
	v_lshlrev_b32_e32 v5, 1, v16
	buffer_store_dword v5, off, s[76:79], 0 offset:116 ; 4-byte Folded Spill
	v_lshlrev_b32_e32 v5, 1, v17
	v_lshlrev_b32_e32 v7, 2, v29
	;; [unrolled: 1-line block ×4, first 2 shown]
	v_mov_b32_e32 v125, v6
	buffer_store_dword v5, off, s[76:79], 0 offset:120 ; 4-byte Folded Spill
	buffer_store_dword v0, off, s[76:79], 0 offset:128 ; 4-byte Folded Spill
	v_mov_b32_e32 v5, v0
	v_mov_b32_e32 v0, v3
	;; [unrolled: 1-line block ×45, first 2 shown]
	s_mov_b32 s49, 0
	buffer_store_dword v1, off, s[76:79], 0 offset:132 ; 4-byte Folded Spill
	buffer_store_dword v2, off, s[76:79], 0 offset:136 ; 4-byte Folded Spill
	;; [unrolled: 1-line block ×3, first 2 shown]
.LBB5_1:                                ; =>This Inner Loop Header: Depth=1
	buffer_store_dword v0, off, s[76:79], 0 ; 4-byte Folded Spill
	buffer_store_dword v2, off, s[76:79], 0 offset:32 ; 4-byte Folded Spill
	buffer_store_dword v1, off, s[76:79], 0 offset:28 ; 4-byte Folded Spill
	;; [unrolled: 1-line block ×5, first 2 shown]
	v_mul_hi_u32 v1, s41, v1
	buffer_load_dword v0, off, s[76:79], 0  ; 4-byte Folded Reload
	v_mul_hi_u32 v3, s41, v2
	s_add_i32 s49, s49, 32
	buffer_store_dword v1, off, s[76:79], 0 offset:36 ; 4-byte Folded Spill
	v_mul_hi_u32 v1, s41, v5
	buffer_store_dword v1, off, s[76:79], 0 offset:52 ; 4-byte Folded Spill
	buffer_load_dword v1, off, s[76:79], 0 offset:124 ; 4-byte Folded Reload
	s_waitcnt vmcnt(3)
	v_mul_hi_u32 v0, s41, v0
	s_waitcnt vmcnt(0)
	v_add_u32_e32 v2, s43, v1
	v_add_u32_e32 v0, v2, v0
	v_lshrrev_b32_e32 v0, s61, v0
	v_mul_hi_u32 v12, v0, s62
	v_mul_lo_u32 v1, s48, v0
	v_add_u32_e32 v12, v0, v12
	v_lshrrev_b32_e32 v12, s60, v12
	v_mul_lo_u32 v13, v12, s58
	v_sub_u32_e32 v14, v12, v33
	v_mul_lo_u32 v14, v14, s54
	v_add_u32_e32 v5, v2, v1
	v_sub_u32_e32 v13, v0, v13
	v_sub_u32_e32 v0, v13, v34
	v_mul_lo_u32 v0, v0, s56
	v_sub_u32_e32 v1, v1, v37
	v_add_u32_e32 v1, v2, v1
	v_add_u32_e32 v20, v14, v32
	;; [unrolled: 1-line block ×3, first 2 shown]
	v_mul_lo_u32 v14, v14, s17
	v_mul_lo_u32 v21, v0, s18
	v_mad_u64_u32 v[0:1], s[2:3], v1, s19, v[4:5]
	v_cmp_gt_i32_e64 s[2:3], s11, v2
	v_cmp_gt_i32_e64 s[8:9], s36, v15
	v_add3_u32 v14, v0, v14, v21
	v_lshlrev_b32_e32 v0, 1, v14
	buffer_load_dwordx4 v[33:36], v0, s[20:23], 0 offen
	v_cmp_le_i32_e64 s[6:7], s67, v15
	s_and_b64 s[2:3], s[8:9], s[2:3]
	s_and_b64 s[8:9], s[2:3], s[6:7]
	v_cmp_le_i32_e64 s[2:3], s68, v20
	v_cmp_gt_i32_e64 s[6:7], s30, v20
	s_and_b64 s[2:3], s[2:3], s[6:7]
	s_and_b64 s[2:3], s[2:3], s[8:9]
	s_and_b64 s[2:3], vcc, s[2:3]
	s_waitcnt vmcnt(0)
	v_cndmask_b32_e64 v0, 0, v36, s[2:3]
	buffer_store_dword v0, off, s[76:79], 0 offset:40 ; 4-byte Folded Spill
	v_cndmask_b32_e64 v0, 0, v35, s[2:3]
	buffer_store_dword v0, off, s[76:79], 0 offset:44 ; 4-byte Folded Spill
	;; [unrolled: 2-line block ×3, first 2 shown]
	buffer_load_dword v0, off, s[76:79], 0 offset:136 ; 4-byte Folded Reload
	v_cndmask_b32_e64 v11, 0, v33, s[2:3]
	v_mov_b32_e32 v34, v18
	s_waitcnt vmcnt(0)
	v_add_u32_e32 v2, s43, v0
	v_add_u32_e32 v0, v2, v3
	v_lshrrev_b32_e32 v3, s61, v0
	v_mad_u64_u32 v[0:1], s[2:3], s48, v3, v[2:3]
	buffer_store_dword v0, off, s[76:79], 0 offset:56 ; 4-byte Folded Spill
	s_nop 0
	buffer_store_dword v1, off, s[76:79], 0 offset:60 ; 4-byte Folded Spill
	v_mul_hi_u32 v1, v3, s62
	v_add_u32_e32 v1, v3, v1
	v_lshrrev_b32_e32 v1, s60, v1
	v_sub_u32_e32 v4, v0, v5
	buffer_load_dword v0, off, s[76:79], 0 offset:120 ; 4-byte Folded Reload
	v_mul_lo_u32 v5, v1, s58
	v_sub_u32_e32 v33, v3, v5
	v_sub_u32_e32 v3, v33, v13
	v_mul_lo_u32 v3, v3, s56
	v_sub_u32_e32 v5, v1, v12
	v_mul_lo_u32 v5, v5, s54
	v_add_u32_e32 v35, v3, v15
	v_mul_lo_u32 v12, v3, s18
	v_mul_lo_u32 v3, v4, s19
	v_cmp_gt_i32_e64 s[8:9], s36, v35
	v_add_u32_e32 v36, v5, v20
	v_cmp_le_i32_e64 s[6:7], s67, v35
	v_mad_u64_u32 v[3:4], s[2:3], v5, s17, v[3:4]
	v_cmp_gt_i32_e64 s[2:3], s11, v2
	s_and_b64 s[2:3], s[8:9], s[2:3]
	v_add3_u32 v6, v3, v14, v12
	v_lshlrev_b32_e32 v3, 1, v6
	buffer_load_dwordx4 v[41:44], v3, s[20:23], 0 offen
	s_and_b64 s[8:9], s[2:3], s[6:7]
	v_cmp_le_i32_e64 s[2:3], s68, v36
	v_cmp_gt_i32_e64 s[6:7], s30, v36
	s_and_b64 s[2:3], s[2:3], s[6:7]
	s_and_b64 s[2:3], s[2:3], s[8:9]
	s_and_b64 s[2:3], vcc, s[2:3]
	s_waitcnt vmcnt(1)
	v_add_u32_e32 v2, v0, v18
	buffer_load_dword v0, off, s[76:79], 0 offset:116 ; 4-byte Folded Reload
	buffer_load_dwordx4 v[45:48], v2, s[24:27], 0 offen
	s_waitcnt vmcnt(2)
	v_cndmask_b32_e64 v12, 0, v44, s[2:3]
	v_cndmask_b32_e64 v13, 0, v43, s[2:3]
	;; [unrolled: 1-line block ×4, first 2 shown]
	v_cmp_gt_i32_e64 s[2:3], s69, v17
	s_and_b64 s[2:3], s[0:1], s[2:3]
	s_waitcnt vmcnt(1)
	v_add_u32_e32 v2, v0, v18
	buffer_load_dwordx4 v[49:52], v2, s[24:27], 0 offen
	s_waitcnt vmcnt(0) lgkmcnt(0)
	s_barrier
	ds_read_b128 v[117:120], v7
	ds_read_b128 v[121:124], v8 offset:16384
	ds_read_b128 v[20:23], v8 offset:16640
	;; [unrolled: 1-line block ×3, first 2 shown]
	v_cndmask_b32_e64 v42, 0, v48, s[2:3]
	v_cndmask_b32_e64 v43, 0, v47, s[2:3]
	;; [unrolled: 1-line block ×4, first 2 shown]
	v_cmp_gt_i32_e64 s[2:3], s69, v16
	s_and_b64 s[2:3], s[0:1], s[2:3]
	s_waitcnt lgkmcnt(2)
	v_dot2_f32_f16 v15, v117, v121, v116
	v_dot2_f32_f16 v24, v117, v122, v115
	v_dot2_f32_f16 v25, v117, v123, v114
	v_dot2_f32_f16 v26, v117, v124, v113
	v_dot2_f32_f16 v27, v118, v121, v112
	v_dot2_f32_f16 v106, v119, v121, v106
	v_dot2_f32_f16 v104, v119, v122, v104
	v_dot2_f32_f16 v102, v119, v123, v102
	v_dot2_f32_f16 v101, v119, v124, v101
	v_dot2_f32_f16 v98, v120, v121, v98
	v_dot2_f32_f16 v96, v120, v122, v96
	v_dot2_f32_f16 v94, v120, v123, v94
	v_dot2_f32_f16 v93, v120, v124, v93
	s_waitcnt lgkmcnt(1)
	v_dot2_f32_f16 v108, v117, v20, v108
	v_dot2_f32_f16 v107, v117, v21, v107
	v_dot2_f32_f16 v105, v117, v22, v105
	v_dot2_f32_f16 v103, v117, v23, v103
	v_dot2_f32_f16 v100, v118, v20, v100
	v_dot2_f32_f16 v99, v118, v21, v99
	v_dot2_f32_f16 v97, v118, v22, v97
	v_dot2_f32_f16 v95, v118, v23, v95
	v_dot2_f32_f16 v92, v119, v20, v92
	v_dot2_f32_f16 v91, v119, v21, v91
	v_dot2_f32_f16 v90, v119, v22, v90
	v_dot2_f32_f16 v86, v119, v23, v86
	v_dot2_f32_f16 v112, v120, v23, v82
	;; [unrolled: 14-line block ×3, first 2 shown]
	v_dot2_f32_f16 v87, v5, v122, v87
	v_dot2_f32_f16 v88, v5, v123, v88
	;; [unrolled: 1-line block ×17, first 2 shown]
	ds_read_b128 v[69:72], v8 offset:16896
	v_cndmask_b32_e64 v46, 0, v52, s[2:3]
	v_cndmask_b32_e64 v47, 0, v51, s[2:3]
	v_cndmask_b32_e64 v48, 0, v50, s[2:3]
	v_dot2_f32_f16 v50, v118, v122, v111
	v_dot2_f32_f16 v51, v118, v123, v110
	v_dot2_f32_f16 v52, v118, v124, v109
	v_dot2_f32_f16 v109, v120, v20, v85
	v_dot2_f32_f16 v110, v120, v21, v84
	v_dot2_f32_f16 v111, v120, v22, v83
	ds_read_b128 v[82:85], v7 offset:512
	v_dot2_f32_f16 v118, v4, v21, v55
	v_dot2_f32_f16 v120, v4, v23, v53
	ds_read_b128 v[2:5], v8 offset:17152
	ds_read_b128 v[20:23], v7 offset:768
	v_cndmask_b32_e64 v49, 0, v49, s[2:3]
	s_waitcnt lgkmcnt(2)
	v_dot2_f32_f16 v15, v82, v69, v15
	v_dot2_f32_f16 v24, v82, v70, v24
	;; [unrolled: 1-line block ×16, first 2 shown]
	s_waitcnt lgkmcnt(1)
	v_dot2_f32_f16 v108, v82, v2, v108
	v_dot2_f32_f16 v107, v82, v3, v107
	;; [unrolled: 1-line block ×16, first 2 shown]
	ds_read_b128 v[50:53], v7 offset:1024
	s_waitcnt lgkmcnt(1)
	v_dot2_f32_f16 v77, v20, v69, v77
	v_dot2_f32_f16 v76, v20, v70, v76
	;; [unrolled: 1-line block ×16, first 2 shown]
	ds_read_b128 v[54:57], v8 offset:17408
	v_dot2_f32_f16 v68, v20, v2, v68
	v_dot2_f32_f16 v66, v20, v3, v66
	v_dot2_f32_f16 v64, v20, v4, v64
	v_dot2_f32_f16 v62, v20, v5, v62
	v_dot2_f32_f16 v61, v21, v2, v61
	v_dot2_f32_f16 v60, v21, v3, v60
	v_dot2_f32_f16 v59, v21, v4, v59
	v_dot2_f32_f16 v58, v21, v5, v58
	v_dot2_f32_f16 v87, v22, v2, v117
	v_dot2_f32_f16 v88, v22, v3, v118
	v_dot2_f32_f16 v89, v22, v4, v119
	v_dot2_f32_f16 v113, v22, v5, v120
	v_dot2_f32_f16 v78, v23, v2, v78
	v_dot2_f32_f16 v79, v23, v3, v79
	v_dot2_f32_f16 v80, v23, v4, v80
	v_dot2_f32_f16 v81, v23, v5, v81
	ds_read_b128 v[2:5], v8 offset:17664
	ds_read_b128 v[20:23], v7 offset:1280
	s_waitcnt lgkmcnt(2)
	v_dot2_f32_f16 v15, v50, v54, v15
	v_dot2_f32_f16 v24, v50, v55, v24
	;; [unrolled: 1-line block ×16, first 2 shown]
	s_waitcnt lgkmcnt(1)
	v_dot2_f32_f16 v108, v50, v2, v108
	v_dot2_f32_f16 v107, v50, v3, v107
	;; [unrolled: 1-line block ×16, first 2 shown]
	ds_read_b128 v[50:53], v7 offset:1536
	s_waitcnt lgkmcnt(1)
	v_dot2_f32_f16 v77, v20, v54, v77
	v_dot2_f32_f16 v76, v20, v55, v76
	;; [unrolled: 1-line block ×16, first 2 shown]
	ds_read_b128 v[54:57], v8 offset:17920
	v_dot2_f32_f16 v68, v20, v2, v68
	v_dot2_f32_f16 v66, v20, v3, v66
	;; [unrolled: 1-line block ×16, first 2 shown]
	ds_read_b128 v[2:5], v8 offset:18176
	ds_read_b128 v[20:23], v7 offset:1792
	s_waitcnt lgkmcnt(2)
	v_dot2_f32_f16 v15, v50, v54, v15
	v_dot2_f32_f16 v24, v50, v55, v24
	;; [unrolled: 1-line block ×16, first 2 shown]
	s_waitcnt lgkmcnt(1)
	v_dot2_f32_f16 v108, v50, v2, v108
	v_dot2_f32_f16 v107, v50, v3, v107
	;; [unrolled: 1-line block ×16, first 2 shown]
	ds_read_b128 v[50:53], v7 offset:2048
	s_waitcnt lgkmcnt(1)
	v_dot2_f32_f16 v77, v20, v54, v77
	v_dot2_f32_f16 v76, v20, v55, v76
	;; [unrolled: 1-line block ×16, first 2 shown]
	ds_read_b128 v[54:57], v8 offset:18432
	v_dot2_f32_f16 v68, v20, v2, v68
	v_dot2_f32_f16 v66, v20, v3, v66
	;; [unrolled: 1-line block ×16, first 2 shown]
	ds_read_b128 v[2:5], v8 offset:18688
	ds_read_b128 v[20:23], v7 offset:2304
	s_waitcnt lgkmcnt(2)
	v_dot2_f32_f16 v15, v50, v54, v15
	v_dot2_f32_f16 v24, v50, v55, v24
	;; [unrolled: 1-line block ×16, first 2 shown]
	s_waitcnt lgkmcnt(1)
	v_dot2_f32_f16 v108, v50, v2, v108
	v_dot2_f32_f16 v107, v50, v3, v107
	;; [unrolled: 1-line block ×16, first 2 shown]
	ds_read_b128 v[50:53], v7 offset:2560
	s_waitcnt lgkmcnt(1)
	v_dot2_f32_f16 v77, v20, v54, v77
	v_dot2_f32_f16 v76, v20, v55, v76
	;; [unrolled: 1-line block ×16, first 2 shown]
	ds_read_b128 v[54:57], v8 offset:18944
	v_dot2_f32_f16 v68, v20, v2, v68
	v_dot2_f32_f16 v66, v20, v3, v66
	;; [unrolled: 1-line block ×16, first 2 shown]
	ds_read_b128 v[2:5], v8 offset:19200
	ds_read_b128 v[20:23], v7 offset:2816
	s_waitcnt lgkmcnt(2)
	v_dot2_f32_f16 v15, v50, v54, v15
	v_dot2_f32_f16 v24, v50, v55, v24
	;; [unrolled: 1-line block ×16, first 2 shown]
	s_waitcnt lgkmcnt(1)
	v_dot2_f32_f16 v108, v50, v2, v108
	v_dot2_f32_f16 v107, v50, v3, v107
	;; [unrolled: 1-line block ×16, first 2 shown]
	ds_read_b128 v[50:53], v7 offset:3072
	s_waitcnt lgkmcnt(1)
	v_dot2_f32_f16 v77, v20, v54, v77
	v_dot2_f32_f16 v76, v20, v55, v76
	;; [unrolled: 1-line block ×16, first 2 shown]
	ds_read_b128 v[54:57], v8 offset:19456
	v_dot2_f32_f16 v68, v20, v2, v68
	v_dot2_f32_f16 v66, v20, v3, v66
	;; [unrolled: 1-line block ×16, first 2 shown]
	ds_read_b128 v[2:5], v8 offset:19712
	ds_read_b128 v[20:23], v7 offset:3328
	s_waitcnt lgkmcnt(2)
	v_dot2_f32_f16 v15, v50, v54, v15
	v_dot2_f32_f16 v24, v50, v55, v24
	;; [unrolled: 1-line block ×16, first 2 shown]
	s_waitcnt lgkmcnt(1)
	v_dot2_f32_f16 v108, v50, v2, v108
	v_dot2_f32_f16 v107, v50, v3, v107
	;; [unrolled: 1-line block ×16, first 2 shown]
	ds_read_b128 v[50:53], v7 offset:3584
	s_waitcnt lgkmcnt(1)
	v_dot2_f32_f16 v77, v20, v54, v77
	v_dot2_f32_f16 v76, v20, v55, v76
	v_dot2_f32_f16 v75, v20, v56, v75
	v_dot2_f32_f16 v74, v20, v57, v74
	v_dot2_f32_f16 v73, v21, v54, v73
	v_dot2_f32_f16 v109, v21, v55, v109
	v_dot2_f32_f16 v110, v21, v56, v110
	v_dot2_f32_f16 v111, v21, v57, v111
	v_dot2_f32_f16 v112, v22, v54, v112
	v_dot2_f32_f16 v67, v22, v55, v67
	v_dot2_f32_f16 v65, v22, v56, v65
	v_dot2_f32_f16 v63, v22, v57, v63
	v_dot2_f32_f16 v69, v23, v54, v69
	v_dot2_f32_f16 v70, v23, v55, v70
	v_dot2_f32_f16 v71, v23, v56, v71
	v_dot2_f32_f16 v72, v23, v57, v72
	ds_read_b128 v[54:57], v8 offset:19968
	v_dot2_f32_f16 v68, v20, v2, v68
	v_dot2_f32_f16 v66, v20, v3, v66
	v_dot2_f32_f16 v64, v20, v4, v64
	v_dot2_f32_f16 v62, v20, v5, v62
	v_dot2_f32_f16 v61, v21, v2, v61
	v_dot2_f32_f16 v60, v21, v3, v60
	v_dot2_f32_f16 v59, v21, v4, v59
	v_dot2_f32_f16 v58, v21, v5, v58
	v_dot2_f32_f16 v87, v22, v2, v87
	v_dot2_f32_f16 v88, v22, v3, v88
	v_dot2_f32_f16 v89, v22, v4, v89
	v_dot2_f32_f16 v113, v22, v5, v113
	v_dot2_f32_f16 v78, v23, v2, v78
	v_dot2_f32_f16 v79, v23, v3, v79
	v_dot2_f32_f16 v80, v23, v4, v80
	v_dot2_f32_f16 v81, v23, v5, v81
	ds_read_b128 v[2:5], v8 offset:20224
	ds_read_b128 v[20:23], v7 offset:3840
	s_waitcnt lgkmcnt(2)
	v_dot2_f32_f16 v15, v50, v54, v15
	v_dot2_f32_f16 v24, v50, v55, v24
	;; [unrolled: 1-line block ×16, first 2 shown]
	s_waitcnt lgkmcnt(1)
	v_dot2_f32_f16 v108, v50, v2, v108
	v_dot2_f32_f16 v107, v50, v3, v107
	;; [unrolled: 1-line block ×16, first 2 shown]
	ds_read_b128 v[50:53], v7 offset:4096
	s_waitcnt lgkmcnt(1)
	v_dot2_f32_f16 v77, v20, v54, v77
	v_dot2_f32_f16 v76, v20, v55, v76
	;; [unrolled: 1-line block ×16, first 2 shown]
	ds_read_b128 v[54:57], v8 offset:20480
	v_dot2_f32_f16 v68, v20, v2, v68
	v_dot2_f32_f16 v66, v20, v3, v66
	;; [unrolled: 1-line block ×16, first 2 shown]
	ds_read_b128 v[2:5], v8 offset:20736
	ds_read_b128 v[20:23], v7 offset:4352
	s_waitcnt lgkmcnt(2)
	v_dot2_f32_f16 v15, v50, v54, v15
	v_dot2_f32_f16 v24, v50, v55, v24
	;; [unrolled: 1-line block ×16, first 2 shown]
	s_waitcnt lgkmcnt(1)
	v_dot2_f32_f16 v108, v50, v2, v108
	v_dot2_f32_f16 v107, v50, v3, v107
	;; [unrolled: 1-line block ×16, first 2 shown]
	ds_read_b128 v[50:53], v7 offset:4608
	s_waitcnt lgkmcnt(1)
	v_dot2_f32_f16 v77, v20, v54, v77
	v_dot2_f32_f16 v76, v20, v55, v76
	;; [unrolled: 1-line block ×16, first 2 shown]
	ds_read_b128 v[54:57], v8 offset:20992
	v_dot2_f32_f16 v68, v20, v2, v68
	v_dot2_f32_f16 v66, v20, v3, v66
	;; [unrolled: 1-line block ×16, first 2 shown]
	ds_read_b128 v[2:5], v8 offset:21248
	ds_read_b128 v[20:23], v7 offset:4864
	s_waitcnt lgkmcnt(2)
	v_dot2_f32_f16 v15, v50, v54, v15
	v_dot2_f32_f16 v24, v50, v55, v24
	;; [unrolled: 1-line block ×16, first 2 shown]
	s_waitcnt lgkmcnt(1)
	v_dot2_f32_f16 v108, v50, v2, v108
	v_dot2_f32_f16 v107, v50, v3, v107
	v_dot2_f32_f16 v105, v50, v4, v105
	v_dot2_f32_f16 v82, v50, v5, v82
	v_dot2_f32_f16 v100, v51, v2, v100
	v_dot2_f32_f16 v99, v51, v3, v99
	v_dot2_f32_f16 v97, v51, v4, v97
	v_dot2_f32_f16 v83, v51, v5, v83
	v_dot2_f32_f16 v92, v52, v2, v92
	v_dot2_f32_f16 v91, v52, v3, v91
	v_dot2_f32_f16 v90, v52, v4, v90
	v_dot2_f32_f16 v84, v52, v5, v84
	v_dot2_f32_f16 v86, v53, v2, v86
	v_dot2_f32_f16 v95, v53, v3, v95
	v_dot2_f32_f16 v103, v53, v4, v103
	v_dot2_f32_f16 v85, v53, v5, v85
	ds_read_b128 v[50:53], v7 offset:5120
	s_waitcnt lgkmcnt(1)
	v_dot2_f32_f16 v77, v20, v54, v77
	v_dot2_f32_f16 v76, v20, v55, v76
	;; [unrolled: 1-line block ×16, first 2 shown]
	ds_read_b128 v[54:57], v8 offset:21504
	v_dot2_f32_f16 v68, v20, v2, v68
	v_dot2_f32_f16 v66, v20, v3, v66
	;; [unrolled: 1-line block ×16, first 2 shown]
	ds_read_b128 v[2:5], v8 offset:21760
	ds_read_b128 v[20:23], v7 offset:5376
	s_waitcnt lgkmcnt(2)
	v_dot2_f32_f16 v15, v50, v54, v15
	v_dot2_f32_f16 v24, v50, v55, v24
	;; [unrolled: 1-line block ×16, first 2 shown]
	s_waitcnt lgkmcnt(1)
	v_dot2_f32_f16 v108, v50, v2, v108
	v_dot2_f32_f16 v107, v50, v3, v107
	;; [unrolled: 1-line block ×16, first 2 shown]
	ds_read_b128 v[50:53], v7 offset:5632
	s_waitcnt lgkmcnt(1)
	v_dot2_f32_f16 v77, v20, v54, v77
	v_dot2_f32_f16 v76, v20, v55, v76
	;; [unrolled: 1-line block ×16, first 2 shown]
	ds_read_b128 v[54:57], v8 offset:22016
	v_dot2_f32_f16 v68, v20, v2, v68
	v_dot2_f32_f16 v66, v20, v3, v66
	;; [unrolled: 1-line block ×16, first 2 shown]
	ds_read_b128 v[2:5], v8 offset:22272
	ds_read_b128 v[20:23], v7 offset:5888
	s_waitcnt lgkmcnt(2)
	v_dot2_f32_f16 v15, v50, v54, v15
	v_dot2_f32_f16 v24, v50, v55, v24
	;; [unrolled: 1-line block ×16, first 2 shown]
	s_waitcnt lgkmcnt(1)
	v_dot2_f32_f16 v108, v50, v2, v108
	v_dot2_f32_f16 v107, v50, v3, v107
	;; [unrolled: 1-line block ×16, first 2 shown]
	ds_read_b128 v[50:53], v7 offset:6144
	s_waitcnt lgkmcnt(1)
	v_dot2_f32_f16 v77, v20, v54, v77
	v_dot2_f32_f16 v76, v20, v55, v76
	;; [unrolled: 1-line block ×16, first 2 shown]
	ds_read_b128 v[54:57], v8 offset:22528
	v_dot2_f32_f16 v68, v20, v2, v68
	v_dot2_f32_f16 v66, v20, v3, v66
	;; [unrolled: 1-line block ×16, first 2 shown]
	ds_read_b128 v[2:5], v8 offset:22784
	ds_read_b128 v[20:23], v7 offset:6400
	s_waitcnt lgkmcnt(2)
	v_dot2_f32_f16 v15, v50, v54, v15
	v_dot2_f32_f16 v24, v50, v55, v24
	;; [unrolled: 1-line block ×16, first 2 shown]
	s_waitcnt lgkmcnt(1)
	v_dot2_f32_f16 v108, v50, v2, v108
	v_dot2_f32_f16 v107, v50, v3, v107
	;; [unrolled: 1-line block ×16, first 2 shown]
	ds_read_b128 v[50:53], v7 offset:6656
	s_waitcnt lgkmcnt(1)
	v_dot2_f32_f16 v77, v20, v54, v77
	v_dot2_f32_f16 v76, v20, v55, v76
	;; [unrolled: 1-line block ×16, first 2 shown]
	ds_read_b128 v[54:57], v8 offset:23040
	v_dot2_f32_f16 v68, v20, v2, v68
	v_dot2_f32_f16 v66, v20, v3, v66
	;; [unrolled: 1-line block ×16, first 2 shown]
	ds_read_b128 v[2:5], v8 offset:23296
	ds_read_b128 v[20:23], v7 offset:6912
	s_waitcnt lgkmcnt(2)
	v_dot2_f32_f16 v15, v50, v54, v15
	v_dot2_f32_f16 v24, v50, v55, v24
	;; [unrolled: 1-line block ×16, first 2 shown]
	s_waitcnt lgkmcnt(1)
	v_dot2_f32_f16 v108, v50, v2, v108
	v_dot2_f32_f16 v107, v50, v3, v107
	;; [unrolled: 1-line block ×16, first 2 shown]
	ds_read_b128 v[50:53], v7 offset:7168
	s_waitcnt lgkmcnt(1)
	v_dot2_f32_f16 v77, v20, v54, v77
	v_dot2_f32_f16 v76, v20, v55, v76
	v_dot2_f32_f16 v75, v20, v56, v75
	v_dot2_f32_f16 v74, v20, v57, v74
	v_dot2_f32_f16 v73, v21, v54, v73
	v_dot2_f32_f16 v109, v21, v55, v109
	v_dot2_f32_f16 v110, v21, v56, v110
	v_dot2_f32_f16 v111, v21, v57, v111
	v_dot2_f32_f16 v112, v22, v54, v112
	v_dot2_f32_f16 v67, v22, v55, v67
	v_dot2_f32_f16 v65, v22, v56, v65
	v_dot2_f32_f16 v63, v22, v57, v63
	v_dot2_f32_f16 v69, v23, v54, v69
	v_dot2_f32_f16 v70, v23, v55, v70
	v_dot2_f32_f16 v71, v23, v56, v71
	v_dot2_f32_f16 v72, v23, v57, v72
	ds_read_b128 v[54:57], v8 offset:23552
	v_dot2_f32_f16 v68, v20, v2, v68
	v_dot2_f32_f16 v66, v20, v3, v66
	;; [unrolled: 1-line block ×16, first 2 shown]
	ds_read_b128 v[2:5], v8 offset:23808
	ds_read_b128 v[20:23], v7 offset:7424
	s_waitcnt lgkmcnt(2)
	v_dot2_f32_f16 v15, v50, v54, v15
	v_dot2_f32_f16 v24, v50, v55, v24
	;; [unrolled: 1-line block ×16, first 2 shown]
	s_waitcnt lgkmcnt(1)
	v_dot2_f32_f16 v108, v50, v2, v108
	v_dot2_f32_f16 v107, v50, v3, v107
	;; [unrolled: 1-line block ×16, first 2 shown]
	ds_read_b128 v[50:53], v7 offset:7680
	s_waitcnt lgkmcnt(1)
	v_dot2_f32_f16 v77, v20, v54, v77
	v_dot2_f32_f16 v76, v20, v55, v76
	;; [unrolled: 1-line block ×16, first 2 shown]
	ds_read_b128 v[54:57], v8 offset:24064
	v_dot2_f32_f16 v32, v20, v2, v68
	v_dot2_f32_f16 v66, v20, v3, v66
	;; [unrolled: 1-line block ×16, first 2 shown]
	ds_read_b128 v[2:5], v8 offset:24320
	ds_read_b128 v[20:23], v7 offset:7936
	s_waitcnt lgkmcnt(2)
	v_dot2_f32_f16 v86, v50, v55, v24
	v_dot2_f32_f16 v88, v50, v57, v26
	;; [unrolled: 1-line block ×3, first 2 shown]
	s_waitcnt lgkmcnt(1)
	v_dot2_f32_f16 v112, v52, v5, v84
	s_waitcnt lgkmcnt(0)
	v_dot2_f32_f16 v84, v23, v57, v0
	buffer_load_dword v0, off, s[76:79], 0 offset:48 ; 4-byte Folded Reload
	v_dot2_f32_f16 v91, v51, v56, v115
	v_dot2_f32_f16 v92, v51, v57, v116
	;; [unrolled: 1-line block ×59, first 2 shown]
	v_mov_b32_e32 v52, v125
	s_waitcnt vmcnt(0)
	ds_write2st64_b32 v9, v11, v0 offset0:32 offset1:34
	buffer_load_dword v0, off, s[76:79], 0 offset:40 ; 4-byte Folded Reload
	buffer_load_dword v2, off, s[76:79], 0 offset:44 ; 4-byte Folded Reload
	s_waitcnt vmcnt(0)
	ds_write2st64_b32 v9, v2, v0 offset0:36 offset1:38
	ds_write2st64_b32 v9, v41, v14 offset0:40 offset1:42
	;; [unrolled: 1-line block ×7, first 2 shown]
	buffer_load_dword v0, off, s[76:79], 0 offset:132 ; 4-byte Folded Reload
	s_waitcnt vmcnt(0)
	v_add_u32_e32 v2, s43, v0
	buffer_load_dword v0, off, s[76:79], 0 offset:36 ; 4-byte Folded Reload
	buffer_load_dword v10, off, s[76:79], 0 offset:56 ; 4-byte Folded Reload
	;; [unrolled: 1-line block ×3, first 2 shown]
	s_waitcnt vmcnt(2)
	v_add_u32_e32 v0, v2, v0
	v_lshrrev_b32_e32 v0, s61, v0
	v_mad_u64_u32 v[4:5], s[2:3], s48, v0, v[2:3]
	v_mul_hi_u32 v5, v0, s62
	s_waitcnt vmcnt(1)
	v_sub_u32_e32 v3, v4, v10
	v_add_u32_e32 v5, v0, v5
	v_lshrrev_b32_e32 v5, s60, v5
	v_mul_lo_u32 v10, v5, s58
	v_sub_u32_e32 v1, v5, v1
	v_mul_lo_u32 v1, v1, s54
	s_waitcnt vmcnt(0)
	v_sub_u32_e32 v11, v0, v10
	v_sub_u32_e32 v0, v11, v33
	v_mul_lo_u32 v0, v0, s56
	v_add_u32_e32 v13, v1, v36
	buffer_load_dword v36, off, s[76:79], 0 offset:12 ; 4-byte Folded Reload
	v_add_u32_e32 v12, v0, v35
	v_mul_lo_u32 v10, v0, s18
	v_mul_lo_u32 v0, v3, s19
	v_cmp_gt_i32_e64 s[8:9], s36, v12
	v_cmp_le_i32_e64 s[6:7], s67, v12
	v_mad_u64_u32 v[0:1], s[2:3], v1, s17, v[0:1]
	v_cmp_gt_i32_e64 s[2:3], s11, v2
	s_and_b64 s[2:3], s[8:9], s[2:3]
	v_add3_u32 v6, v0, v10, v6
	v_lshlrev_b32_e32 v0, 1, v6
	buffer_load_dwordx4 v[0:3], v0, s[20:23], 0 offen
	s_and_b64 s[8:9], s[2:3], s[6:7]
	v_cmp_le_i32_e64 s[2:3], s68, v13
	v_cmp_gt_i32_e64 s[6:7], s30, v13
	s_and_b64 s[2:3], s[2:3], s[6:7]
	s_and_b64 s[2:3], s[2:3], s[8:9]
	s_and_b64 s[2:3], vcc, s[2:3]
	s_waitcnt vmcnt(0)
	v_cndmask_b32_e64 v0, 0, v0, s[2:3]
	buffer_store_dword v0, off, s[76:79], 0 offset:48 ; 4-byte Folded Spill
	buffer_load_dword v0, off, s[76:79], 0 offset:128 ; 4-byte Folded Reload
	v_cndmask_b32_e64 v3, 0, v3, s[2:3]
	v_cndmask_b32_e64 v2, 0, v2, s[2:3]
	buffer_store_dword v3, off, s[76:79], 0 offset:36 ; 4-byte Folded Spill
	buffer_store_dword v2, off, s[76:79], 0 offset:40 ; 4-byte Folded Spill
	buffer_load_dword v3, off, s[76:79], 0 offset:8 ; 4-byte Folded Reload
	v_cndmask_b32_e64 v1, 0, v1, s[2:3]
	buffer_store_dword v1, off, s[76:79], 0 offset:44 ; 4-byte Folded Spill
	s_add_i32 s2, s38, s45
	s_add_i32 s2, s2, s2
	s_waitcnt vmcnt(4)
	v_add_u32_e32 v2, s43, v0
	buffer_load_dword v0, off, s[76:79], 0 offset:52 ; 4-byte Folded Reload
	s_add_i32 s43, s43, s47
	s_waitcnt vmcnt(2)
	v_add_u32_e32 v3, s2, v3
	buffer_store_dword v3, off, s[76:79], 0 offset:8 ; 4-byte Folded Spill
	s_waitcnt vmcnt(1)
	v_add_u32_e32 v0, v2, v0
	v_lshrrev_b32_e32 v0, s61, v0
	v_mul_lo_u32 v1, v0, s59
	v_sub_u32_e32 v1, v3, v1
	v_mul_hi_u32 v3, v0, s62
	buffer_store_dword v1, off, s[76:79], 0 offset:72 ; 4-byte Folded Spill
	v_mul_lo_u32 v1, s48, v0
	v_add_u32_e32 v3, v0, v3
	v_lshrrev_b32_e32 v33, s60, v3
	v_mul_lo_u32 v3, v33, s58
	buffer_store_dword v1, off, s[76:79], 0 offset:140 ; 4-byte Folded Spill
	v_add_u32_e32 v1, v2, v1
	v_sub_u32_e32 v1, v1, v4
	v_sub_u32_e32 v10, v0, v3
	;; [unrolled: 1-line block ×3, first 2 shown]
	v_mul_lo_u32 v0, v0, s56
	v_sub_u32_e32 v3, v33, v5
	v_mul_lo_u32 v3, v3, s54
	v_add_u32_e32 v28, v0, v12
	v_mul_lo_u32 v4, v0, s18
	v_mul_lo_u32 v0, v1, s19
	v_add_u32_e32 v32, v3, v13
	v_cmp_gt_i32_e64 s[8:9], s36, v28
	v_cmp_le_i32_e64 s[6:7], s67, v28
	v_mad_u64_u32 v[0:1], s[2:3], v3, s17, v[0:1]
	v_cmp_gt_i32_e64 s[2:3], s11, v2
	s_and_b64 s[2:3], s[8:9], s[2:3]
	v_add3_u32 v4, v0, v4, v6
	v_lshlrev_b32_e32 v0, 1, v4
	buffer_load_dwordx4 v[0:3], v0, s[20:23], 0 offen
	s_and_b64 s[8:9], s[2:3], s[6:7]
	v_cmp_le_i32_e64 s[2:3], s68, v32
	v_cmp_gt_i32_e64 s[6:7], s30, v32
	s_and_b64 s[2:3], s[2:3], s[6:7]
	s_and_b64 s[2:3], s[2:3], s[8:9]
	s_and_b64 s[2:3], vcc, s[2:3]
	s_waitcnt vmcnt(0)
	v_cndmask_b32_e64 v0, 0, v0, s[2:3]
	buffer_store_dword v0, off, s[76:79], 0 offset:88 ; 4-byte Folded Spill
	buffer_load_dword v0, off, s[76:79], 0 offset:112 ; 4-byte Folded Reload
	v_cndmask_b32_e64 v3, 0, v3, s[2:3]
	v_cndmask_b32_e64 v2, 0, v2, s[2:3]
	;; [unrolled: 1-line block ×3, first 2 shown]
	buffer_store_dword v3, off, s[76:79], 0 offset:76 ; 4-byte Folded Spill
	buffer_store_dword v2, off, s[76:79], 0 offset:80 ; 4-byte Folded Spill
	;; [unrolled: 1-line block ×3, first 2 shown]
	v_cmp_gt_i32_e64 s[2:3], s69, v52
	s_and_b64 s[2:3], s[0:1], s[2:3]
	s_waitcnt vmcnt(3)
	v_add_u32_e32 v0, v0, v34
	buffer_load_dwordx4 v[0:3], v0, s[24:27], 0 offen
	s_waitcnt vmcnt(0)
	v_cndmask_b32_e64 v0, 0, v0, s[2:3]
	buffer_store_dword v0, off, s[76:79], 0 offset:68 ; 4-byte Folded Spill
	buffer_load_dword v0, off, s[76:79], 0 offset:4 ; 4-byte Folded Reload
	v_cndmask_b32_e64 v3, 0, v3, s[2:3]
	v_cndmask_b32_e64 v2, 0, v2, s[2:3]
	;; [unrolled: 1-line block ×3, first 2 shown]
	s_add_i32 s2, s44, s10
	s_add_i32 s2, s2, s2
	buffer_store_dword v3, off, s[76:79], 0 offset:52 ; 4-byte Folded Spill
	buffer_store_dword v2, off, s[76:79], 0 offset:56 ; 4-byte Folded Spill
	;; [unrolled: 1-line block ×3, first 2 shown]
	s_waitcnt vmcnt(3)
	v_add_u32_e32 v0, s2, v0
	buffer_store_dword v0, off, s[76:79], 0 offset:4 ; 4-byte Folded Spill
	buffer_load_dword v0, off, s[76:79], 0 offset:108 ; 4-byte Folded Reload
	v_cmp_gt_i32_e64 s[2:3], s69, v36
	s_and_b64 s[2:3], s[0:1], s[2:3]
	v_add_u32_e32 v36, s28, v36
	s_cmp_lt_i32 s49, s16
	s_waitcnt vmcnt(0)
	v_add_u32_e32 v0, v0, v34
	buffer_load_dwordx4 v[0:3], v0, s[24:27], 0 offen
	s_waitcnt vmcnt(0)
	v_cndmask_b32_e64 v3, 0, v3, s[2:3]
	v_cndmask_b32_e64 v2, 0, v2, s[2:3]
	;; [unrolled: 1-line block ×4, first 2 shown]
	buffer_store_dword v3, off, s[76:79], 0 offset:92 ; 4-byte Folded Spill
	buffer_store_dword v2, off, s[76:79], 0 offset:96 ; 4-byte Folded Spill
	;; [unrolled: 1-line block ×4, first 2 shown]
	s_waitcnt vmcnt(0) lgkmcnt(0)
	s_barrier
	ds_read_b128 v[0:3], v7 offset:8192
	ds_read_b128 v[20:23], v8 offset:24576
	;; [unrolled: 1-line block ×4, first 2 shown]
	s_waitcnt lgkmcnt(2)
	v_dot2_f32_f16 v5, v0, v20, v85
	v_dot2_f32_f16 v6, v0, v21, v86
	;; [unrolled: 1-line block ×16, first 2 shown]
	s_waitcnt lgkmcnt(1)
	v_dot2_f32_f16 v40, v0, v117, v101
	v_dot2_f32_f16 v69, v0, v118, v102
	;; [unrolled: 1-line block ×16, first 2 shown]
	ds_read_b128 v[0:3], v7 offset:8704
	s_waitcnt lgkmcnt(1)
	v_dot2_f32_f16 v18, v121, v20, v18
	v_dot2_f32_f16 v24, v121, v21, v24
	;; [unrolled: 1-line block ×16, first 2 shown]
	ds_read_b128 v[20:23], v8 offset:25088
	v_dot2_f32_f16 v96, v121, v117, v53
	v_dot2_f32_f16 v97, v121, v118, v54
	;; [unrolled: 1-line block ×7, first 2 shown]
	ds_read_b128 v[53:56], v8 offset:25344
	ds_read_b128 v[57:60], v7 offset:8960
	v_dot2_f32_f16 v15, v122, v118, v15
	v_dot2_f32_f16 v61, v123, v117, v61
	;; [unrolled: 1-line block ×9, first 2 shown]
	s_waitcnt lgkmcnt(2)
	v_dot2_f32_f16 v5, v0, v20, v5
	v_dot2_f32_f16 v6, v0, v21, v6
	;; [unrolled: 1-line block ×16, first 2 shown]
	s_waitcnt lgkmcnt(1)
	v_dot2_f32_f16 v40, v0, v53, v40
	v_dot2_f32_f16 v69, v0, v54, v69
	;; [unrolled: 1-line block ×16, first 2 shown]
	ds_read_b128 v[0:3], v7 offset:9216
	s_waitcnt lgkmcnt(1)
	v_dot2_f32_f16 v18, v57, v20, v18
	v_dot2_f32_f16 v24, v57, v21, v24
	;; [unrolled: 1-line block ×16, first 2 shown]
	ds_read_b128 v[20:23], v8 offset:25600
	v_dot2_f32_f16 v96, v57, v53, v96
	v_dot2_f32_f16 v97, v57, v54, v97
	;; [unrolled: 1-line block ×16, first 2 shown]
	ds_read_b128 v[53:56], v8 offset:25856
	ds_read_b128 v[57:60], v7 offset:9472
	s_waitcnt lgkmcnt(2)
	v_dot2_f32_f16 v5, v0, v20, v5
	v_dot2_f32_f16 v6, v0, v21, v6
	;; [unrolled: 1-line block ×16, first 2 shown]
	s_waitcnt lgkmcnt(1)
	v_dot2_f32_f16 v40, v0, v53, v40
	v_dot2_f32_f16 v69, v0, v54, v69
	;; [unrolled: 1-line block ×16, first 2 shown]
	ds_read_b128 v[0:3], v7 offset:9728
	s_waitcnt lgkmcnt(1)
	v_dot2_f32_f16 v18, v57, v20, v18
	v_dot2_f32_f16 v24, v57, v21, v24
	;; [unrolled: 1-line block ×16, first 2 shown]
	ds_read_b128 v[20:23], v8 offset:26112
	v_dot2_f32_f16 v96, v57, v53, v96
	v_dot2_f32_f16 v97, v57, v54, v97
	v_dot2_f32_f16 v98, v57, v55, v98
	v_dot2_f32_f16 v99, v57, v56, v99
	v_dot2_f32_f16 v100, v58, v53, v100
	v_dot2_f32_f16 v15, v58, v54, v15
	v_dot2_f32_f16 v101, v58, v55, v101
	v_dot2_f32_f16 v102, v58, v56, v102
	v_dot2_f32_f16 v61, v59, v53, v61
	v_dot2_f32_f16 v62, v59, v54, v62
	v_dot2_f32_f16 v63, v59, v55, v63
	v_dot2_f32_f16 v64, v59, v56, v64
	v_dot2_f32_f16 v65, v60, v53, v65
	v_dot2_f32_f16 v66, v60, v54, v66
	v_dot2_f32_f16 v67, v60, v55, v67
	v_dot2_f32_f16 v68, v60, v56, v68
	ds_read_b128 v[53:56], v8 offset:26368
	ds_read_b128 v[57:60], v7 offset:9984
	s_waitcnt lgkmcnt(2)
	v_dot2_f32_f16 v5, v0, v20, v5
	v_dot2_f32_f16 v6, v0, v21, v6
	;; [unrolled: 1-line block ×16, first 2 shown]
	s_waitcnt lgkmcnt(1)
	v_dot2_f32_f16 v40, v0, v53, v40
	v_dot2_f32_f16 v69, v0, v54, v69
	;; [unrolled: 1-line block ×16, first 2 shown]
	ds_read_b128 v[0:3], v7 offset:10240
	s_waitcnt lgkmcnt(1)
	v_dot2_f32_f16 v18, v57, v20, v18
	v_dot2_f32_f16 v24, v57, v21, v24
	;; [unrolled: 1-line block ×16, first 2 shown]
	ds_read_b128 v[20:23], v8 offset:26624
	v_dot2_f32_f16 v96, v57, v53, v96
	v_dot2_f32_f16 v97, v57, v54, v97
	;; [unrolled: 1-line block ×16, first 2 shown]
	ds_read_b128 v[53:56], v8 offset:26880
	ds_read_b128 v[57:60], v7 offset:10496
	s_waitcnt lgkmcnt(2)
	v_dot2_f32_f16 v5, v0, v20, v5
	v_dot2_f32_f16 v6, v0, v21, v6
	;; [unrolled: 1-line block ×16, first 2 shown]
	s_waitcnt lgkmcnt(1)
	v_dot2_f32_f16 v40, v0, v53, v40
	v_dot2_f32_f16 v69, v0, v54, v69
	;; [unrolled: 1-line block ×16, first 2 shown]
	ds_read_b128 v[0:3], v7 offset:10752
	s_waitcnt lgkmcnt(1)
	v_dot2_f32_f16 v18, v57, v20, v18
	v_dot2_f32_f16 v24, v57, v21, v24
	;; [unrolled: 1-line block ×16, first 2 shown]
	ds_read_b128 v[20:23], v8 offset:27136
	v_dot2_f32_f16 v96, v57, v53, v96
	v_dot2_f32_f16 v97, v57, v54, v97
	v_dot2_f32_f16 v98, v57, v55, v98
	v_dot2_f32_f16 v99, v57, v56, v99
	v_dot2_f32_f16 v100, v58, v53, v100
	v_dot2_f32_f16 v15, v58, v54, v15
	v_dot2_f32_f16 v101, v58, v55, v101
	v_dot2_f32_f16 v102, v58, v56, v102
	v_dot2_f32_f16 v61, v59, v53, v61
	v_dot2_f32_f16 v62, v59, v54, v62
	v_dot2_f32_f16 v63, v59, v55, v63
	v_dot2_f32_f16 v64, v59, v56, v64
	v_dot2_f32_f16 v65, v60, v53, v65
	v_dot2_f32_f16 v66, v60, v54, v66
	v_dot2_f32_f16 v67, v60, v55, v67
	v_dot2_f32_f16 v68, v60, v56, v68
	ds_read_b128 v[53:56], v8 offset:27392
	ds_read_b128 v[57:60], v7 offset:11008
	s_waitcnt lgkmcnt(2)
	v_dot2_f32_f16 v5, v0, v20, v5
	v_dot2_f32_f16 v6, v0, v21, v6
	;; [unrolled: 1-line block ×16, first 2 shown]
	s_waitcnt lgkmcnt(1)
	v_dot2_f32_f16 v40, v0, v53, v40
	v_dot2_f32_f16 v69, v0, v54, v69
	v_dot2_f32_f16 v70, v0, v55, v70
	v_dot2_f32_f16 v71, v0, v56, v71
	v_dot2_f32_f16 v72, v1, v53, v72
	v_dot2_f32_f16 v85, v1, v54, v85
	v_dot2_f32_f16 v86, v1, v55, v86
	v_dot2_f32_f16 v87, v1, v56, v87
	v_dot2_f32_f16 v88, v2, v53, v88
	v_dot2_f32_f16 v89, v2, v54, v89
	v_dot2_f32_f16 v90, v2, v55, v90
	v_dot2_f32_f16 v91, v2, v56, v91
	v_dot2_f32_f16 v92, v3, v53, v92
	v_dot2_f32_f16 v93, v3, v54, v93
	v_dot2_f32_f16 v94, v3, v55, v94
	v_dot2_f32_f16 v95, v3, v56, v95
	ds_read_b128 v[0:3], v7 offset:11264
	s_waitcnt lgkmcnt(1)
	v_dot2_f32_f16 v18, v57, v20, v18
	v_dot2_f32_f16 v24, v57, v21, v24
	;; [unrolled: 1-line block ×16, first 2 shown]
	ds_read_b128 v[20:23], v8 offset:27648
	v_dot2_f32_f16 v96, v57, v53, v96
	v_dot2_f32_f16 v97, v57, v54, v97
	v_dot2_f32_f16 v98, v57, v55, v98
	v_dot2_f32_f16 v99, v57, v56, v99
	v_dot2_f32_f16 v100, v58, v53, v100
	v_dot2_f32_f16 v15, v58, v54, v15
	v_dot2_f32_f16 v101, v58, v55, v101
	v_dot2_f32_f16 v102, v58, v56, v102
	v_dot2_f32_f16 v61, v59, v53, v61
	v_dot2_f32_f16 v62, v59, v54, v62
	v_dot2_f32_f16 v63, v59, v55, v63
	v_dot2_f32_f16 v64, v59, v56, v64
	v_dot2_f32_f16 v65, v60, v53, v65
	v_dot2_f32_f16 v66, v60, v54, v66
	v_dot2_f32_f16 v67, v60, v55, v67
	v_dot2_f32_f16 v68, v60, v56, v68
	ds_read_b128 v[53:56], v8 offset:27904
	ds_read_b128 v[57:60], v7 offset:11520
	s_waitcnt lgkmcnt(2)
	v_dot2_f32_f16 v5, v0, v20, v5
	v_dot2_f32_f16 v6, v0, v21, v6
	v_dot2_f32_f16 v11, v0, v22, v11
	v_dot2_f32_f16 v12, v0, v23, v12
	v_dot2_f32_f16 v13, v1, v20, v13
	v_dot2_f32_f16 v14, v1, v21, v14
	v_dot2_f32_f16 v16, v1, v22, v16
	v_dot2_f32_f16 v17, v1, v23, v17
	v_dot2_f32_f16 v19, v2, v20, v19
	v_dot2_f32_f16 v27, v2, v21, v27
	v_dot2_f32_f16 v29, v2, v22, v29
	v_dot2_f32_f16 v30, v2, v23, v30
	v_dot2_f32_f16 v31, v3, v20, v31
	v_dot2_f32_f16 v37, v3, v21, v37
	v_dot2_f32_f16 v38, v3, v22, v38
	v_dot2_f32_f16 v39, v3, v23, v39
	s_waitcnt lgkmcnt(1)
	v_dot2_f32_f16 v40, v0, v53, v40
	v_dot2_f32_f16 v69, v0, v54, v69
	;; [unrolled: 1-line block ×16, first 2 shown]
	ds_read_b128 v[0:3], v7 offset:11776
	s_waitcnt lgkmcnt(1)
	v_dot2_f32_f16 v18, v57, v20, v18
	v_dot2_f32_f16 v24, v57, v21, v24
	;; [unrolled: 1-line block ×16, first 2 shown]
	ds_read_b128 v[20:23], v8 offset:28160
	v_dot2_f32_f16 v96, v57, v53, v96
	v_dot2_f32_f16 v97, v57, v54, v97
	;; [unrolled: 1-line block ×16, first 2 shown]
	ds_read_b128 v[53:56], v8 offset:28416
	ds_read_b128 v[57:60], v7 offset:12032
	s_waitcnt lgkmcnt(2)
	v_dot2_f32_f16 v5, v0, v20, v5
	v_dot2_f32_f16 v6, v0, v21, v6
	;; [unrolled: 1-line block ×16, first 2 shown]
	s_waitcnt lgkmcnt(1)
	v_dot2_f32_f16 v40, v0, v53, v40
	v_dot2_f32_f16 v69, v0, v54, v69
	;; [unrolled: 1-line block ×16, first 2 shown]
	ds_read_b128 v[0:3], v7 offset:12288
	s_waitcnt lgkmcnt(1)
	v_dot2_f32_f16 v18, v57, v20, v18
	v_dot2_f32_f16 v24, v57, v21, v24
	;; [unrolled: 1-line block ×16, first 2 shown]
	ds_read_b128 v[20:23], v8 offset:28672
	v_dot2_f32_f16 v96, v57, v53, v96
	v_dot2_f32_f16 v97, v57, v54, v97
	;; [unrolled: 1-line block ×16, first 2 shown]
	ds_read_b128 v[53:56], v8 offset:28928
	ds_read_b128 v[57:60], v7 offset:12544
	s_waitcnt lgkmcnt(2)
	v_dot2_f32_f16 v5, v0, v20, v5
	v_dot2_f32_f16 v6, v0, v21, v6
	;; [unrolled: 1-line block ×16, first 2 shown]
	s_waitcnt lgkmcnt(1)
	v_dot2_f32_f16 v40, v0, v53, v40
	v_dot2_f32_f16 v69, v0, v54, v69
	;; [unrolled: 1-line block ×16, first 2 shown]
	ds_read_b128 v[0:3], v7 offset:12800
	s_waitcnt lgkmcnt(1)
	v_dot2_f32_f16 v18, v57, v20, v18
	v_dot2_f32_f16 v24, v57, v21, v24
	;; [unrolled: 1-line block ×16, first 2 shown]
	ds_read_b128 v[20:23], v8 offset:29184
	v_dot2_f32_f16 v96, v57, v53, v96
	v_dot2_f32_f16 v97, v57, v54, v97
	;; [unrolled: 1-line block ×16, first 2 shown]
	ds_read_b128 v[53:56], v8 offset:29440
	ds_read_b128 v[57:60], v7 offset:13056
	s_waitcnt lgkmcnt(2)
	v_dot2_f32_f16 v5, v0, v20, v5
	v_dot2_f32_f16 v6, v0, v21, v6
	;; [unrolled: 1-line block ×16, first 2 shown]
	s_waitcnt lgkmcnt(1)
	v_dot2_f32_f16 v40, v0, v53, v40
	v_dot2_f32_f16 v69, v0, v54, v69
	;; [unrolled: 1-line block ×16, first 2 shown]
	ds_read_b128 v[0:3], v7 offset:13312
	s_waitcnt lgkmcnt(1)
	v_dot2_f32_f16 v18, v57, v20, v18
	v_dot2_f32_f16 v24, v57, v21, v24
	;; [unrolled: 1-line block ×16, first 2 shown]
	ds_read_b128 v[20:23], v8 offset:29696
	v_dot2_f32_f16 v96, v57, v53, v96
	v_dot2_f32_f16 v97, v57, v54, v97
	;; [unrolled: 1-line block ×16, first 2 shown]
	ds_read_b128 v[53:56], v8 offset:29952
	ds_read_b128 v[57:60], v7 offset:13568
	s_waitcnt lgkmcnt(2)
	v_dot2_f32_f16 v5, v0, v20, v5
	v_dot2_f32_f16 v6, v0, v21, v6
	;; [unrolled: 1-line block ×16, first 2 shown]
	s_waitcnt lgkmcnt(1)
	v_dot2_f32_f16 v40, v0, v53, v40
	v_dot2_f32_f16 v69, v0, v54, v69
	;; [unrolled: 1-line block ×16, first 2 shown]
	ds_read_b128 v[0:3], v7 offset:13824
	s_waitcnt lgkmcnt(1)
	v_dot2_f32_f16 v18, v57, v20, v18
	v_dot2_f32_f16 v24, v57, v21, v24
	;; [unrolled: 1-line block ×16, first 2 shown]
	ds_read_b128 v[20:23], v8 offset:30208
	v_dot2_f32_f16 v96, v57, v53, v96
	v_dot2_f32_f16 v97, v57, v54, v97
	;; [unrolled: 1-line block ×16, first 2 shown]
	ds_read_b128 v[53:56], v8 offset:30464
	ds_read_b128 v[57:60], v7 offset:14080
	s_waitcnt lgkmcnt(2)
	v_dot2_f32_f16 v5, v0, v20, v5
	v_dot2_f32_f16 v6, v0, v21, v6
	;; [unrolled: 1-line block ×16, first 2 shown]
	s_waitcnt lgkmcnt(1)
	v_dot2_f32_f16 v40, v0, v53, v40
	v_dot2_f32_f16 v69, v0, v54, v69
	;; [unrolled: 1-line block ×16, first 2 shown]
	ds_read_b128 v[0:3], v7 offset:14336
	s_waitcnt lgkmcnt(1)
	v_dot2_f32_f16 v18, v57, v20, v18
	v_dot2_f32_f16 v24, v57, v21, v24
	;; [unrolled: 1-line block ×16, first 2 shown]
	ds_read_b128 v[20:23], v8 offset:30720
	v_dot2_f32_f16 v96, v57, v53, v96
	v_dot2_f32_f16 v97, v57, v54, v97
	;; [unrolled: 1-line block ×16, first 2 shown]
	ds_read_b128 v[53:56], v8 offset:30976
	ds_read_b128 v[57:60], v7 offset:14592
	s_waitcnt lgkmcnt(2)
	v_dot2_f32_f16 v5, v0, v20, v5
	v_dot2_f32_f16 v6, v0, v21, v6
	;; [unrolled: 1-line block ×16, first 2 shown]
	s_waitcnt lgkmcnt(1)
	v_dot2_f32_f16 v40, v0, v53, v40
	v_dot2_f32_f16 v69, v0, v54, v69
	;; [unrolled: 1-line block ×16, first 2 shown]
	ds_read_b128 v[0:3], v7 offset:14848
	s_waitcnt lgkmcnt(1)
	v_dot2_f32_f16 v18, v57, v20, v18
	v_dot2_f32_f16 v24, v57, v21, v24
	;; [unrolled: 1-line block ×16, first 2 shown]
	ds_read_b128 v[20:23], v8 offset:31232
	v_dot2_f32_f16 v96, v57, v53, v96
	v_dot2_f32_f16 v97, v57, v54, v97
	;; [unrolled: 1-line block ×16, first 2 shown]
	ds_read_b128 v[53:56], v8 offset:31488
	ds_read_b128 v[57:60], v7 offset:15104
	s_waitcnt lgkmcnt(2)
	v_dot2_f32_f16 v5, v0, v20, v5
	v_dot2_f32_f16 v6, v0, v21, v6
	;; [unrolled: 1-line block ×16, first 2 shown]
	s_waitcnt lgkmcnt(1)
	v_dot2_f32_f16 v40, v0, v53, v40
	v_dot2_f32_f16 v103, v0, v54, v69
	;; [unrolled: 1-line block ×16, first 2 shown]
	ds_read_b128 v[0:3], v7 offset:15360
	s_waitcnt lgkmcnt(1)
	v_dot2_f32_f16 v18, v57, v20, v18
	v_dot2_f32_f16 v24, v57, v21, v24
	;; [unrolled: 1-line block ×16, first 2 shown]
	ds_read_b128 v[20:23], v8 offset:31744
	v_dot2_f32_f16 v42, v57, v53, v96
	v_dot2_f32_f16 v43, v57, v54, v97
	ds_read_b128 v[90:93], v8 offset:32000
	ds_read_b128 v[94:97], v7 offset:15616
	v_dot2_f32_f16 v15, v58, v54, v15
	v_dot2_f32_f16 v98, v57, v55, v98
	;; [unrolled: 1-line block ×14, first 2 shown]
	s_waitcnt lgkmcnt(2)
	v_dot2_f32_f16 v53, v0, v20, v5
	v_dot2_f32_f16 v54, v0, v21, v6
	;; [unrolled: 1-line block ×16, first 2 shown]
	s_waitcnt lgkmcnt(1)
	v_dot2_f32_f16 v69, v0, v90, v40
	v_dot2_f32_f16 v70, v0, v91, v103
	;; [unrolled: 1-line block ×16, first 2 shown]
	ds_read_b128 v[0:3], v7 offset:15872
	s_waitcnt lgkmcnt(1)
	v_dot2_f32_f16 v88, v94, v20, v18
	v_dot2_f32_f16 v89, v94, v21, v24
	;; [unrolled: 1-line block ×16, first 2 shown]
	ds_read_b128 v[20:23], v8 offset:32256
	v_dot2_f32_f16 v30, v95, v91, v15
	ds_read_b128 v[12:15], v8 offset:32512
	ds_read_b128 v[24:27], v7 offset:16128
	v_dot2_f32_f16 v16, v94, v90, v42
	v_dot2_f32_f16 v17, v94, v91, v43
	v_dot2_f32_f16 v37, v96, v90, v44
	v_dot2_f32_f16 v18, v94, v92, v98
	v_dot2_f32_f16 v19, v94, v93, v99
	v_dot2_f32_f16 v29, v95, v90, v100
	v_dot2_f32_f16 v31, v95, v92, v101
	v_dot2_f32_f16 v35, v95, v93, v102
	v_dot2_f32_f16 v38, v96, v91, v45
	v_dot2_f32_f16 v39, v96, v92, v46
	v_dot2_f32_f16 v40, v96, v93, v47
	v_dot2_f32_f16 v41, v97, v90, v48
	v_dot2_f32_f16 v42, v97, v91, v49
	v_dot2_f32_f16 v43, v97, v92, v50
	v_dot2_f32_f16 v44, v97, v93, v51
	s_waitcnt lgkmcnt(2)
	v_dot2_f32_f16 v116, v0, v20, v53
	v_dot2_f32_f16 v115, v0, v21, v54
	;; [unrolled: 1-line block ×16, first 2 shown]
	s_waitcnt lgkmcnt(1)
	v_dot2_f32_f16 v108, v0, v12, v69
	v_dot2_f32_f16 v107, v0, v13, v70
	;; [unrolled: 1-line block ×4, first 2 shown]
	buffer_load_dword v0, off, s[76:79], 0  ; 4-byte Folded Reload
	v_dot2_f32_f16 v100, v1, v12, v73
	v_dot2_f32_f16 v99, v1, v13, v74
	;; [unrolled: 1-line block ×4, first 2 shown]
	buffer_load_dword v1, off, s[76:79], 0 offset:28 ; 4-byte Folded Reload
	v_dot2_f32_f16 v92, v2, v12, v77
	v_dot2_f32_f16 v91, v2, v13, v78
	;; [unrolled: 1-line block ×4, first 2 shown]
	buffer_load_dword v2, off, s[76:79], 0 offset:32 ; 4-byte Folded Reload
	v_dot2_f32_f16 v85, v3, v12, v81
	v_dot2_f32_f16 v84, v3, v13, v82
	;; [unrolled: 1-line block ×4, first 2 shown]
	s_waitcnt lgkmcnt(0)
	v_dot2_f32_f16 v77, v24, v20, v88
	v_dot2_f32_f16 v87, v27, v21, v5
	v_dot2_f32_f16 v88, v27, v22, v6
	v_dot2_f32_f16 v68, v24, v12, v16
	buffer_load_dword v16, off, s[76:79], 0 offset:16 ; 4-byte Folded Reload
	v_dot2_f32_f16 v66, v24, v13, v17
	buffer_load_dword v17, off, s[76:79], 0 offset:20 ; 4-byte Folded Reload
	v_dot2_f32_f16 v56, v26, v12, v37
	buffer_load_dword v37, off, s[76:79], 0 offset:72 ; 4-byte Folded Reload
	buffer_load_dword v5, off, s[76:79], 0 offset:24 ; 4-byte Folded Reload
	;; [unrolled: 1-line block ×4, first 2 shown]
	v_dot2_f32_f16 v64, v24, v14, v18
	v_mov_b32_e32 v18, v34
	v_dot2_f32_f16 v76, v24, v21, v89
	v_dot2_f32_f16 v75, v24, v22, v117
	;; [unrolled: 1-line block ×13, first 2 shown]
	v_mov_b32_e32 v34, v10
	v_dot2_f32_f16 v62, v24, v15, v19
	v_dot2_f32_f16 v61, v25, v12, v29
	;; [unrolled: 1-line block ×12, first 2 shown]
	v_add_u32_e32 v125, s28, v52
	v_add_u32_e32 v18, s46, v18
	s_waitcnt vmcnt(8)
	v_add_u32_e32 v0, s47, v0
	s_waitcnt vmcnt(7)
	;; [unrolled: 2-line block ×7, first 2 shown]
	ds_write2st64_b32 v9, v6, v3 offset1:2
	buffer_load_dword v3, off, s[76:79], 0 offset:36 ; 4-byte Folded Reload
	buffer_load_dword v6, off, s[76:79], 0 offset:40 ; 4-byte Folded Reload
	s_waitcnt vmcnt(0)
	ds_write2st64_b32 v9, v6, v3 offset0:4 offset1:6
	buffer_load_dword v3, off, s[76:79], 0 offset:84 ; 4-byte Folded Reload
	buffer_load_dword v6, off, s[76:79], 0 offset:88 ; 4-byte Folded Reload
	s_waitcnt vmcnt(0)
	ds_write2st64_b32 v9, v6, v3 offset0:8 offset1:10
	;; [unrolled: 4-line block ×7, first 2 shown]
	buffer_store_dword v36, off, s[76:79], 0 offset:12 ; 4-byte Folded Spill
	s_cbranch_scc1 .LBB5_1
; %bb.2:
	buffer_load_dword v0, off, s[76:79], 0 offset:152 ; 4-byte Folded Reload
	buffer_load_dword v5, off, s[76:79], 0 offset:140 ; 4-byte Folded Reload
	s_load_dwordx2 s[2:3], s[4:5], 0x10
	s_mul_i32 s4, s14, s72
	s_mul_hi_u32 s5, s14, s71
	s_add_i32 s4, s5, s4
	s_mul_i32 s5, s15, s71
	s_add_i32 s5, s4, s5
	s_mul_i32 s4, s14, s71
	s_lshl_b64 s[4:5], s[4:5], 1
	s_add_u32 s16, s64, s4
	s_addc_u32 s14, s65, s5
	s_mul_i32 s4, s12, s72
	s_mul_hi_u32 s5, s12, s71
	s_add_i32 s4, s5, s4
	s_mul_i32 s5, s13, s71
	s_add_i32 s5, s4, s5
	s_mul_i32 s4, s12, s71
	s_lshl_b64 s[4:5], s[4:5], 1
	s_waitcnt lgkmcnt(0)
	s_add_u32 s28, s2, s4
	s_addc_u32 s15, s3, s5
	s_add_i32 s45, s45, s43
	s_waitcnt vmcnt(1)
	v_add_u32_e32 v0, 4, v0
	v_mul_lo_u32 v0, s70, v0
	v_add_u32_e32 v42, s45, v0
	v_mul_hi_u32 v1, v42, s41
	s_waitcnt vmcnt(0)
	v_add3_u32 v5, v0, v5, s43
	v_add_u32_e32 v31, s38, v42
	v_cmp_gt_i32_e64 s[6:7], s11, v42
	v_add_u32_e32 v1, v42, v1
	v_lshrrev_b32_e32 v1, s61, v1
	v_mul_hi_u32 v2, v1, s62
	v_mul_lo_u32 v3, v1, s59
	v_cmp_gt_i32_e64 s[8:9], s11, v31
	v_add_u32_e32 v2, v1, v2
	v_lshrrev_b32_e32 v11, s60, v2
	v_mul_lo_u32 v2, v11, s58
	v_sub_u32_e32 v0, v42, v3
	v_sub_u32_e32 v3, v0, v5
	;; [unrolled: 1-line block ×5, first 2 shown]
	v_mul_lo_u32 v29, v2, s56
	v_mul_lo_u32 v30, v5, s54
	;; [unrolled: 1-line block ×4, first 2 shown]
	v_mad_u64_u32 v[2:3], s[2:3], v30, s17, v[2:3]
	v_mul_hi_u32 v3, v31, s41
	v_add3_u32 v20, v2, v5, v4
	buffer_load_dword v2, off, s[76:79], 0 offset:4 ; 4-byte Folded Reload
	v_lshlrev_b32_e32 v16, 1, v20
	s_waitcnt vmcnt(0)
	v_add_u32_e32 v41, s10, v2
	v_add_u32_e32 v2, v31, v3
	buffer_load_dword v3, off, s[76:79], 0 offset:156 ; 4-byte Folded Reload
	v_lshrrev_b32_e32 v4, s61, v2
	v_mul_hi_u32 v2, v4, s62
	s_waitcnt vmcnt(0) lgkmcnt(0)
	s_barrier
	buffer_load_dwordx4 v[16:19], v16, s[20:23], 0 offen
	v_add_u32_e32 v2, v4, v2
	v_lshrrev_b32_e32 v13, s60, v2
	v_mad_u64_u32 v[1:2], s[2:3], v13, s58, v[1:2]
	v_add_u32_e32 v12, v41, v3
	v_mad_u64_u32 v[2:3], s[2:3], v4, s59, v[0:1]
	v_sub_u32_e32 v0, v4, v1
	v_lshlrev_b32_e32 v1, 1, v12
	buffer_load_dwordx4 v[3:6], v1, s[24:27], 0 offen
	v_sub_u32_e32 v1, v13, v11
	v_mul_lo_u32 v0, v0, s56
	v_mul_lo_u32 v1, v1, s54
	v_add_lshl_u32 v11, v12, s44, 1
	v_sub_u32_e32 v2, v31, v2
	buffer_load_dwordx4 v[12:15], v11, s[24:27], 0 offen
	v_mul_lo_u32 v11, v1, s17
	v_mul_lo_u32 v21, v0, s18
	;; [unrolled: 1-line block ×3, first 2 shown]
	v_cmp_gt_i32_e64 s[2:3], s69, v41
	s_and_b64 s[2:3], s[0:1], s[2:3]
	s_and_b32 s17, s14, 0xffff
	v_add3_u32 v2, v11, v2, v21
	v_add_lshl_u32 v2, v2, v20, 1
	buffer_load_dwordx4 v[20:23], v2, s[20:23], 0 offen
	v_add_u32_e32 v2, s44, v41
	v_cmp_gt_i32_e64 s[4:5], s69, v2
	v_add_u32_e32 v2, v30, v32
	v_cmp_le_i32_e64 s[10:11], s68, v2
	v_cmp_gt_i32_e64 s[12:13], s30, v2
	v_add_u32_e32 v1, v1, v2
	s_and_b64 s[18:19], s[10:11], s[12:13]
	v_cmp_le_i32_e64 s[10:11], s68, v1
	v_cmp_gt_i32_e64 s[12:13], s30, v1
	v_add_u32_e32 v1, v29, v28
	s_and_b64 s[20:21], s[10:11], s[12:13]
	v_cmp_gt_i32_e64 s[12:13], s36, v1
	v_cmp_le_i32_e64 s[10:11], s67, v1
	s_and_b64 s[6:7], s[12:13], s[6:7]
	v_add_u32_e32 v0, v0, v1
	ds_read_b128 v[24:27], v7
	ds_read_b128 v[33:36], v8 offset:16384
	ds_read_b128 v[37:40], v8 offset:16640
	s_and_b64 s[6:7], s[6:7], s[10:11]
	v_cmp_gt_i32_e64 s[10:11], s36, v0
	ds_read_b128 v[28:31], v7 offset:256
	s_and_b64 s[12:13], s[18:19], s[6:7]
	v_cmp_le_i32_e64 s[6:7], s67, v0
	s_and_b64 s[8:9], s[10:11], s[8:9]
	s_and_b64 s[6:7], s[8:9], s[6:7]
	;; [unrolled: 1-line block ×4, first 2 shown]
	s_waitcnt lgkmcnt(2)
	v_dot2_f32_f16 v41, v24, v35, v114
	v_dot2_f32_f16 v42, v24, v36, v113
	;; [unrolled: 1-line block ×14, first 2 shown]
	s_waitcnt lgkmcnt(1)
	v_dot2_f32_f16 v96, v24, v37, v108
	v_dot2_f32_f16 v98, v24, v38, v107
	;; [unrolled: 1-line block ×16, first 2 shown]
	s_lshl_b32 s30, s42, 1
	s_lshl_b32 s18, s40, 1
	s_waitcnt vmcnt(2)
	v_cndmask_b32_e64 v2, 0, v4, s[2:3]
	v_cndmask_b32_e64 v4, 0, v3, s[2:3]
	;; [unrolled: 1-line block ×4, first 2 shown]
	v_dot2_f32_f16 v5, v24, v33, v116
	v_dot2_f32_f16 v6, v24, v34, v115
	s_waitcnt vmcnt(1)
	v_cndmask_b32_e64 v3, 0, v15, s[0:1]
	v_cndmask_b32_e64 v10, 0, v14, s[0:1]
	;; [unrolled: 1-line block ×4, first 2 shown]
	s_and_b64 s[0:1], vcc, s[12:13]
	s_and_b64 vcc, vcc, s[6:7]
	v_cndmask_b32_e64 v13, 0, v19, s[0:1]
	v_cndmask_b32_e64 v14, 0, v18, s[0:1]
	;; [unrolled: 1-line block ×4, first 2 shown]
	s_waitcnt vmcnt(0)
	v_cndmask_b32_e32 v16, 0, v23, vcc
	v_cndmask_b32_e32 v18, 0, v22, vcc
	;; [unrolled: 1-line block ×3, first 2 shown]
	ds_read_b128 v[21:24], v7 offset:512
	s_waitcnt lgkmcnt(1)
	v_dot2_f32_f16 v77, v28, v33, v77
	v_dot2_f32_f16 v76, v28, v34, v76
	v_dot2_f32_f16 v75, v28, v35, v75
	v_dot2_f32_f16 v74, v28, v36, v74
	v_dot2_f32_f16 v73, v29, v33, v73
	v_dot2_f32_f16 v72, v29, v34, v72
	v_dot2_f32_f16 v71, v29, v35, v71
	v_dot2_f32_f16 v70, v29, v36, v70
	v_dot2_f32_f16 v69, v30, v33, v69
	v_dot2_f32_f16 v67, v30, v34, v67
	v_dot2_f32_f16 v65, v30, v35, v65
	v_dot2_f32_f16 v63, v30, v36, v63
	v_dot2_f32_f16 v57, v31, v33, v57
	v_dot2_f32_f16 v87, v31, v34, v87
	v_dot2_f32_f16 v88, v31, v35, v88
	v_dot2_f32_f16 v89, v31, v36, v89
	ds_read_b128 v[32:35], v8 offset:16896
	v_dot2_f32_f16 v68, v28, v37, v68
	v_dot2_f32_f16 v66, v28, v38, v66
	;; [unrolled: 1-line block ×13, first 2 shown]
	ds_read_b128 v[25:28], v8 offset:17152
	ds_read_b128 v[36:39], v7 offset:768
	v_dot2_f32_f16 v58, v29, v40, v58
	v_dot2_f32_f16 v53, v30, v40, v53
	;; [unrolled: 1-line block ×3, first 2 shown]
	s_waitcnt lgkmcnt(2)
	v_dot2_f32_f16 v5, v21, v32, v5
	v_dot2_f32_f16 v6, v21, v33, v6
	;; [unrolled: 1-line block ×16, first 2 shown]
	s_waitcnt lgkmcnt(1)
	v_dot2_f32_f16 v94, v21, v25, v96
	v_dot2_f32_f16 v96, v21, v26, v98
	;; [unrolled: 1-line block ×16, first 2 shown]
	ds_read_b128 v[21:24], v7 offset:1024
	s_waitcnt lgkmcnt(1)
	v_dot2_f32_f16 v77, v36, v32, v77
	v_dot2_f32_f16 v76, v36, v33, v76
	;; [unrolled: 1-line block ×16, first 2 shown]
	ds_read_b128 v[29:32], v8 offset:17408
	v_dot2_f32_f16 v68, v36, v25, v68
	v_dot2_f32_f16 v66, v36, v26, v66
	;; [unrolled: 1-line block ×16, first 2 shown]
	ds_read_b128 v[25:28], v8 offset:17664
	ds_read_b128 v[33:36], v7 offset:1280
	s_waitcnt lgkmcnt(2)
	v_dot2_f32_f16 v5, v21, v29, v5
	v_dot2_f32_f16 v6, v21, v30, v6
	;; [unrolled: 1-line block ×16, first 2 shown]
	s_waitcnt lgkmcnt(1)
	v_dot2_f32_f16 v80, v21, v25, v94
	v_dot2_f32_f16 v81, v21, v26, v96
	;; [unrolled: 1-line block ×16, first 2 shown]
	ds_read_b128 v[21:24], v7 offset:1536
	s_waitcnt lgkmcnt(1)
	v_dot2_f32_f16 v77, v33, v29, v77
	v_dot2_f32_f16 v76, v33, v30, v76
	;; [unrolled: 1-line block ×16, first 2 shown]
	ds_read_b128 v[29:32], v8 offset:17920
	v_dot2_f32_f16 v68, v33, v25, v68
	v_dot2_f32_f16 v66, v33, v26, v66
	;; [unrolled: 1-line block ×16, first 2 shown]
	ds_read_b128 v[25:28], v8 offset:18176
	ds_read_b128 v[33:36], v7 offset:1792
	s_waitcnt lgkmcnt(2)
	v_dot2_f32_f16 v5, v21, v29, v5
	v_dot2_f32_f16 v6, v21, v30, v6
	;; [unrolled: 1-line block ×16, first 2 shown]
	s_waitcnt lgkmcnt(1)
	v_dot2_f32_f16 v80, v21, v25, v80
	v_dot2_f32_f16 v81, v21, v26, v81
	v_dot2_f32_f16 v93, v21, v27, v93
	v_dot2_f32_f16 v94, v21, v28, v94
	v_dot2_f32_f16 v96, v22, v25, v96
	v_dot2_f32_f16 v98, v22, v26, v98
	v_dot2_f32_f16 v97, v22, v27, v97
	v_dot2_f32_f16 v95, v22, v28, v95
	v_dot2_f32_f16 v92, v23, v25, v92
	v_dot2_f32_f16 v91, v23, v26, v91
	v_dot2_f32_f16 v90, v23, v27, v90
	v_dot2_f32_f16 v86, v23, v28, v86
	v_dot2_f32_f16 v85, v24, v25, v85
	v_dot2_f32_f16 v84, v24, v26, v84
	v_dot2_f32_f16 v83, v24, v27, v83
	v_dot2_f32_f16 v82, v24, v28, v82
	ds_read_b128 v[21:24], v7 offset:2048
	s_waitcnt lgkmcnt(1)
	v_dot2_f32_f16 v77, v33, v29, v77
	v_dot2_f32_f16 v76, v33, v30, v76
	v_dot2_f32_f16 v75, v33, v31, v75
	v_dot2_f32_f16 v74, v33, v32, v74
	v_dot2_f32_f16 v73, v34, v29, v73
	v_dot2_f32_f16 v72, v34, v30, v72
	v_dot2_f32_f16 v71, v34, v31, v71
	v_dot2_f32_f16 v70, v34, v32, v70
	v_dot2_f32_f16 v69, v35, v29, v69
	v_dot2_f32_f16 v67, v35, v30, v67
	v_dot2_f32_f16 v65, v35, v31, v65
	v_dot2_f32_f16 v63, v35, v32, v63
	v_dot2_f32_f16 v57, v36, v29, v57
	v_dot2_f32_f16 v87, v36, v30, v87
	v_dot2_f32_f16 v88, v36, v31, v88
	v_dot2_f32_f16 v89, v36, v32, v89
	ds_read_b128 v[29:32], v8 offset:18432
	v_dot2_f32_f16 v68, v33, v25, v68
	v_dot2_f32_f16 v66, v33, v26, v66
	v_dot2_f32_f16 v64, v33, v27, v64
	v_dot2_f32_f16 v62, v33, v28, v62
	v_dot2_f32_f16 v61, v34, v25, v61
	v_dot2_f32_f16 v60, v34, v26, v60
	v_dot2_f32_f16 v59, v34, v27, v59
	v_dot2_f32_f16 v37, v34, v28, v37
	v_dot2_f32_f16 v56, v35, v25, v56
	v_dot2_f32_f16 v55, v35, v26, v55
	v_dot2_f32_f16 v54, v35, v27, v54
	v_dot2_f32_f16 v38, v35, v28, v38
	v_dot2_f32_f16 v53, v36, v25, v53
	v_dot2_f32_f16 v58, v36, v26, v58
	v_dot2_f32_f16 v78, v36, v27, v78
	v_dot2_f32_f16 v39, v36, v28, v39
	ds_read_b128 v[25:28], v8 offset:18688
	ds_read_b128 v[33:36], v7 offset:2304
	s_waitcnt lgkmcnt(2)
	v_dot2_f32_f16 v5, v21, v29, v5
	v_dot2_f32_f16 v6, v21, v30, v6
	;; [unrolled: 1-line block ×16, first 2 shown]
	s_waitcnt lgkmcnt(1)
	v_dot2_f32_f16 v80, v21, v25, v80
	v_dot2_f32_f16 v81, v21, v26, v81
	;; [unrolled: 1-line block ×16, first 2 shown]
	ds_read_b128 v[21:24], v7 offset:2560
	s_waitcnt lgkmcnt(1)
	v_dot2_f32_f16 v77, v33, v29, v77
	v_dot2_f32_f16 v76, v33, v30, v76
	;; [unrolled: 1-line block ×16, first 2 shown]
	ds_read_b128 v[29:32], v8 offset:18944
	v_dot2_f32_f16 v68, v33, v25, v68
	v_dot2_f32_f16 v66, v33, v26, v66
	;; [unrolled: 1-line block ×16, first 2 shown]
	ds_read_b128 v[25:28], v8 offset:19200
	ds_read_b128 v[33:36], v7 offset:2816
	s_waitcnt lgkmcnt(2)
	v_dot2_f32_f16 v5, v21, v29, v5
	v_dot2_f32_f16 v6, v21, v30, v6
	;; [unrolled: 1-line block ×16, first 2 shown]
	s_waitcnt lgkmcnt(1)
	v_dot2_f32_f16 v80, v21, v25, v80
	v_dot2_f32_f16 v81, v21, v26, v81
	;; [unrolled: 1-line block ×16, first 2 shown]
	ds_read_b128 v[21:24], v7 offset:3072
	s_waitcnt lgkmcnt(1)
	v_dot2_f32_f16 v77, v33, v29, v77
	v_dot2_f32_f16 v76, v33, v30, v76
	;; [unrolled: 1-line block ×16, first 2 shown]
	ds_read_b128 v[29:32], v8 offset:19456
	v_dot2_f32_f16 v68, v33, v25, v68
	v_dot2_f32_f16 v66, v33, v26, v66
	;; [unrolled: 1-line block ×16, first 2 shown]
	ds_read_b128 v[25:28], v8 offset:19712
	ds_read_b128 v[33:36], v7 offset:3328
	s_waitcnt lgkmcnt(2)
	v_dot2_f32_f16 v5, v21, v29, v5
	v_dot2_f32_f16 v6, v21, v30, v6
	;; [unrolled: 1-line block ×16, first 2 shown]
	s_waitcnt lgkmcnt(1)
	v_dot2_f32_f16 v80, v21, v25, v80
	v_dot2_f32_f16 v81, v21, v26, v81
	;; [unrolled: 1-line block ×16, first 2 shown]
	ds_read_b128 v[21:24], v7 offset:3584
	s_waitcnt lgkmcnt(1)
	v_dot2_f32_f16 v77, v33, v29, v77
	v_dot2_f32_f16 v76, v33, v30, v76
	;; [unrolled: 1-line block ×16, first 2 shown]
	ds_read_b128 v[29:32], v8 offset:19968
	v_dot2_f32_f16 v68, v33, v25, v68
	v_dot2_f32_f16 v66, v33, v26, v66
	;; [unrolled: 1-line block ×16, first 2 shown]
	ds_read_b128 v[25:28], v8 offset:20224
	ds_read_b128 v[33:36], v7 offset:3840
	s_waitcnt lgkmcnt(2)
	v_dot2_f32_f16 v5, v21, v29, v5
	v_dot2_f32_f16 v6, v21, v30, v6
	v_dot2_f32_f16 v40, v21, v31, v40
	v_dot2_f32_f16 v41, v21, v32, v41
	v_dot2_f32_f16 v42, v22, v29, v42
	v_dot2_f32_f16 v43, v22, v30, v43
	v_dot2_f32_f16 v44, v22, v31, v44
	v_dot2_f32_f16 v45, v22, v32, v45
	v_dot2_f32_f16 v46, v23, v29, v46
	v_dot2_f32_f16 v47, v23, v30, v47
	v_dot2_f32_f16 v48, v23, v31, v48
	v_dot2_f32_f16 v49, v23, v32, v49
	v_dot2_f32_f16 v50, v24, v29, v50
	v_dot2_f32_f16 v51, v24, v30, v51
	v_dot2_f32_f16 v52, v24, v31, v52
	v_dot2_f32_f16 v79, v24, v32, v79
	s_waitcnt lgkmcnt(1)
	v_dot2_f32_f16 v80, v21, v25, v80
	v_dot2_f32_f16 v81, v21, v26, v81
	;; [unrolled: 1-line block ×16, first 2 shown]
	ds_read_b128 v[21:24], v7 offset:4096
	s_waitcnt lgkmcnt(1)
	v_dot2_f32_f16 v77, v33, v29, v77
	v_dot2_f32_f16 v76, v33, v30, v76
	;; [unrolled: 1-line block ×16, first 2 shown]
	ds_read_b128 v[29:32], v8 offset:20480
	v_dot2_f32_f16 v68, v33, v25, v68
	v_dot2_f32_f16 v66, v33, v26, v66
	;; [unrolled: 1-line block ×16, first 2 shown]
	ds_read_b128 v[25:28], v8 offset:20736
	ds_read_b128 v[33:36], v7 offset:4352
	s_waitcnt lgkmcnt(2)
	v_dot2_f32_f16 v5, v21, v29, v5
	v_dot2_f32_f16 v6, v21, v30, v6
	;; [unrolled: 1-line block ×16, first 2 shown]
	s_waitcnt lgkmcnt(1)
	v_dot2_f32_f16 v80, v21, v25, v80
	v_dot2_f32_f16 v81, v21, v26, v81
	;; [unrolled: 1-line block ×16, first 2 shown]
	ds_read_b128 v[21:24], v7 offset:4608
	s_waitcnt lgkmcnt(1)
	v_dot2_f32_f16 v77, v33, v29, v77
	v_dot2_f32_f16 v76, v33, v30, v76
	;; [unrolled: 1-line block ×16, first 2 shown]
	ds_read_b128 v[29:32], v8 offset:20992
	v_dot2_f32_f16 v68, v33, v25, v68
	v_dot2_f32_f16 v66, v33, v26, v66
	v_dot2_f32_f16 v64, v33, v27, v64
	v_dot2_f32_f16 v62, v33, v28, v62
	v_dot2_f32_f16 v61, v34, v25, v61
	v_dot2_f32_f16 v60, v34, v26, v60
	v_dot2_f32_f16 v59, v34, v27, v59
	v_dot2_f32_f16 v37, v34, v28, v37
	v_dot2_f32_f16 v56, v35, v25, v56
	v_dot2_f32_f16 v55, v35, v26, v55
	v_dot2_f32_f16 v54, v35, v27, v54
	v_dot2_f32_f16 v38, v35, v28, v38
	v_dot2_f32_f16 v53, v36, v25, v53
	v_dot2_f32_f16 v58, v36, v26, v58
	v_dot2_f32_f16 v78, v36, v27, v78
	v_dot2_f32_f16 v39, v36, v28, v39
	ds_read_b128 v[25:28], v8 offset:21248
	ds_read_b128 v[33:36], v7 offset:4864
	s_waitcnt lgkmcnt(2)
	v_dot2_f32_f16 v5, v21, v29, v5
	v_dot2_f32_f16 v6, v21, v30, v6
	;; [unrolled: 1-line block ×16, first 2 shown]
	s_waitcnt lgkmcnt(1)
	v_dot2_f32_f16 v80, v21, v25, v80
	v_dot2_f32_f16 v81, v21, v26, v81
	;; [unrolled: 1-line block ×16, first 2 shown]
	ds_read_b128 v[21:24], v7 offset:5120
	s_waitcnt lgkmcnt(1)
	v_dot2_f32_f16 v77, v33, v29, v77
	v_dot2_f32_f16 v76, v33, v30, v76
	;; [unrolled: 1-line block ×16, first 2 shown]
	ds_read_b128 v[29:32], v8 offset:21504
	v_dot2_f32_f16 v68, v33, v25, v68
	v_dot2_f32_f16 v66, v33, v26, v66
	;; [unrolled: 1-line block ×16, first 2 shown]
	ds_read_b128 v[25:28], v8 offset:21760
	ds_read_b128 v[33:36], v7 offset:5376
	s_waitcnt lgkmcnt(2)
	v_dot2_f32_f16 v5, v21, v29, v5
	v_dot2_f32_f16 v6, v21, v30, v6
	v_dot2_f32_f16 v40, v21, v31, v40
	v_dot2_f32_f16 v41, v21, v32, v41
	v_dot2_f32_f16 v42, v22, v29, v42
	v_dot2_f32_f16 v43, v22, v30, v43
	v_dot2_f32_f16 v44, v22, v31, v44
	v_dot2_f32_f16 v45, v22, v32, v45
	v_dot2_f32_f16 v46, v23, v29, v46
	v_dot2_f32_f16 v47, v23, v30, v47
	v_dot2_f32_f16 v48, v23, v31, v48
	v_dot2_f32_f16 v49, v23, v32, v49
	v_dot2_f32_f16 v50, v24, v29, v50
	v_dot2_f32_f16 v51, v24, v30, v51
	v_dot2_f32_f16 v52, v24, v31, v52
	v_dot2_f32_f16 v79, v24, v32, v79
	s_waitcnt lgkmcnt(1)
	v_dot2_f32_f16 v80, v21, v25, v80
	v_dot2_f32_f16 v81, v21, v26, v81
	;; [unrolled: 1-line block ×16, first 2 shown]
	ds_read_b128 v[21:24], v7 offset:5632
	s_waitcnt lgkmcnt(1)
	v_dot2_f32_f16 v77, v33, v29, v77
	v_dot2_f32_f16 v76, v33, v30, v76
	v_dot2_f32_f16 v75, v33, v31, v75
	v_dot2_f32_f16 v74, v33, v32, v74
	v_dot2_f32_f16 v73, v34, v29, v73
	v_dot2_f32_f16 v72, v34, v30, v72
	v_dot2_f32_f16 v71, v34, v31, v71
	v_dot2_f32_f16 v70, v34, v32, v70
	v_dot2_f32_f16 v69, v35, v29, v69
	v_dot2_f32_f16 v67, v35, v30, v67
	v_dot2_f32_f16 v65, v35, v31, v65
	v_dot2_f32_f16 v63, v35, v32, v63
	v_dot2_f32_f16 v57, v36, v29, v57
	v_dot2_f32_f16 v87, v36, v30, v87
	v_dot2_f32_f16 v88, v36, v31, v88
	v_dot2_f32_f16 v89, v36, v32, v89
	ds_read_b128 v[29:32], v8 offset:22016
	v_dot2_f32_f16 v68, v33, v25, v68
	v_dot2_f32_f16 v66, v33, v26, v66
	;; [unrolled: 1-line block ×16, first 2 shown]
	ds_read_b128 v[25:28], v8 offset:22272
	ds_read_b128 v[33:36], v7 offset:5888
	s_waitcnt lgkmcnt(2)
	v_dot2_f32_f16 v5, v21, v29, v5
	v_dot2_f32_f16 v6, v21, v30, v6
	;; [unrolled: 1-line block ×16, first 2 shown]
	s_waitcnt lgkmcnt(1)
	v_dot2_f32_f16 v80, v21, v25, v80
	v_dot2_f32_f16 v81, v21, v26, v81
	;; [unrolled: 1-line block ×16, first 2 shown]
	ds_read_b128 v[21:24], v7 offset:6144
	s_waitcnt lgkmcnt(1)
	v_dot2_f32_f16 v77, v33, v29, v77
	v_dot2_f32_f16 v76, v33, v30, v76
	;; [unrolled: 1-line block ×16, first 2 shown]
	ds_read_b128 v[29:32], v8 offset:22528
	v_dot2_f32_f16 v68, v33, v25, v68
	v_dot2_f32_f16 v66, v33, v26, v66
	;; [unrolled: 1-line block ×16, first 2 shown]
	ds_read_b128 v[25:28], v8 offset:22784
	ds_read_b128 v[33:36], v7 offset:6400
	s_waitcnt lgkmcnt(2)
	v_dot2_f32_f16 v5, v21, v29, v5
	v_dot2_f32_f16 v6, v21, v30, v6
	;; [unrolled: 1-line block ×16, first 2 shown]
	s_waitcnt lgkmcnt(1)
	v_dot2_f32_f16 v80, v21, v25, v80
	v_dot2_f32_f16 v81, v21, v26, v81
	;; [unrolled: 1-line block ×16, first 2 shown]
	ds_read_b128 v[21:24], v7 offset:6656
	s_waitcnt lgkmcnt(1)
	v_dot2_f32_f16 v77, v33, v29, v77
	v_dot2_f32_f16 v76, v33, v30, v76
	;; [unrolled: 1-line block ×16, first 2 shown]
	ds_read_b128 v[29:32], v8 offset:23040
	v_dot2_f32_f16 v68, v33, v25, v68
	v_dot2_f32_f16 v66, v33, v26, v66
	;; [unrolled: 1-line block ×16, first 2 shown]
	ds_read_b128 v[25:28], v8 offset:23296
	ds_read_b128 v[33:36], v7 offset:6912
	s_waitcnt lgkmcnt(2)
	v_dot2_f32_f16 v5, v21, v29, v5
	v_dot2_f32_f16 v6, v21, v30, v6
	;; [unrolled: 1-line block ×16, first 2 shown]
	s_waitcnt lgkmcnt(1)
	v_dot2_f32_f16 v80, v21, v25, v80
	v_dot2_f32_f16 v81, v21, v26, v81
	;; [unrolled: 1-line block ×16, first 2 shown]
	ds_read_b128 v[21:24], v7 offset:7168
	s_waitcnt lgkmcnt(1)
	v_dot2_f32_f16 v77, v33, v29, v77
	v_dot2_f32_f16 v76, v33, v30, v76
	;; [unrolled: 1-line block ×16, first 2 shown]
	ds_read_b128 v[29:32], v8 offset:23552
	v_dot2_f32_f16 v68, v33, v25, v68
	v_dot2_f32_f16 v66, v33, v26, v66
	;; [unrolled: 1-line block ×16, first 2 shown]
	ds_read_b128 v[25:28], v8 offset:23808
	ds_read_b128 v[33:36], v7 offset:7424
	v_cndmask_b32_e32 v20, 0, v20, vcc
	s_waitcnt lgkmcnt(2)
	v_dot2_f32_f16 v5, v21, v29, v5
	v_dot2_f32_f16 v6, v21, v30, v6
	;; [unrolled: 1-line block ×16, first 2 shown]
	s_waitcnt lgkmcnt(1)
	v_dot2_f32_f16 v80, v21, v25, v80
	v_dot2_f32_f16 v81, v21, v26, v81
	;; [unrolled: 1-line block ×16, first 2 shown]
	ds_read_b128 v[21:24], v7 offset:7680
	s_waitcnt lgkmcnt(1)
	v_dot2_f32_f16 v77, v33, v29, v77
	v_dot2_f32_f16 v76, v33, v30, v76
	;; [unrolled: 1-line block ×16, first 2 shown]
	ds_read_b128 v[29:32], v8 offset:24064
	v_dot2_f32_f16 v68, v33, v25, v68
	v_dot2_f32_f16 v66, v33, v26, v66
	;; [unrolled: 1-line block ×16, first 2 shown]
	ds_read_b128 v[25:28], v8 offset:24320
	ds_read_b128 v[33:36], v7 offset:7936
	ds_write2st64_b32 v9, v17, v15 offset0:32 offset1:34
	ds_write2st64_b32 v9, v14, v13 offset0:36 offset1:38
	ds_write2st64_b32 v9, v20, v19 offset0:40 offset1:42
	ds_write2st64_b32 v9, v18, v16 offset0:44 offset1:46
	ds_write2st64_b32 v9, v4, v2 offset0:96 offset1:98
	ds_write2st64_b32 v9, v1, v0 offset0:100 offset1:102
	ds_write2st64_b32 v9, v12, v11 offset0:104 offset1:106
	ds_write2st64_b32 v9, v10, v3 offset0:108 offset1:110
	s_waitcnt lgkmcnt(0)
	s_barrier
	ds_read_b128 v[0:3], v7 offset:8192
	ds_read_b128 v[9:12], v8 offset:24576
	;; [unrolled: 1-line block ×4, first 2 shown]
	v_dot2_f32_f16 v5, v21, v29, v5
	v_dot2_f32_f16 v6, v21, v30, v6
	;; [unrolled: 1-line block ×64, first 2 shown]
	s_waitcnt lgkmcnt(2)
	v_dot2_f32_f16 v5, v0, v9, v5
	v_dot2_f32_f16 v6, v0, v10, v6
	v_dot2_f32_f16 v28, v0, v11, v40
	v_dot2_f32_f16 v36, v0, v12, v41
	v_dot2_f32_f16 v38, v1, v9, v42
	v_dot2_f32_f16 v39, v1, v10, v43
	v_dot2_f32_f16 v40, v1, v11, v44
	v_dot2_f32_f16 v41, v1, v12, v45
	v_dot2_f32_f16 v42, v2, v9, v46
	v_dot2_f32_f16 v43, v2, v10, v47
	v_dot2_f32_f16 v44, v2, v11, v48
	v_dot2_f32_f16 v45, v2, v12, v49
	v_dot2_f32_f16 v46, v3, v9, v50
	v_dot2_f32_f16 v47, v3, v10, v51
	v_dot2_f32_f16 v48, v3, v11, v52
	v_dot2_f32_f16 v49, v3, v12, v79
	s_waitcnt lgkmcnt(1)
	v_dot2_f32_f16 v50, v0, v13, v80
	v_dot2_f32_f16 v51, v0, v14, v81
	;; [unrolled: 1-line block ×16, first 2 shown]
	ds_read_b128 v[0:3], v7 offset:8704
	s_waitcnt lgkmcnt(1)
	v_dot2_f32_f16 v77, v17, v9, v77
	v_dot2_f32_f16 v76, v17, v10, v76
	;; [unrolled: 1-line block ×16, first 2 shown]
	ds_read_b128 v[9:12], v8 offset:25088
	v_dot2_f32_f16 v57, v17, v13, v57
	v_dot2_f32_f16 v66, v17, v14, v66
	;; [unrolled: 1-line block ×16, first 2 shown]
	ds_read_b128 v[13:16], v8 offset:25344
	ds_read_b128 v[17:20], v7 offset:8960
	s_waitcnt lgkmcnt(2)
	v_dot2_f32_f16 v5, v0, v9, v5
	v_dot2_f32_f16 v6, v0, v10, v6
	;; [unrolled: 1-line block ×16, first 2 shown]
	s_waitcnt lgkmcnt(1)
	v_dot2_f32_f16 v50, v0, v13, v50
	v_dot2_f32_f16 v51, v0, v14, v51
	;; [unrolled: 1-line block ×16, first 2 shown]
	ds_read_b128 v[0:3], v7 offset:9216
	s_waitcnt lgkmcnt(1)
	v_dot2_f32_f16 v77, v17, v9, v77
	v_dot2_f32_f16 v76, v17, v10, v76
	;; [unrolled: 1-line block ×16, first 2 shown]
	ds_read_b128 v[9:12], v8 offset:25600
	v_dot2_f32_f16 v57, v17, v13, v57
	v_dot2_f32_f16 v66, v17, v14, v66
	;; [unrolled: 1-line block ×16, first 2 shown]
	ds_read_b128 v[13:16], v8 offset:25856
	ds_read_b128 v[17:20], v7 offset:9472
	s_waitcnt lgkmcnt(2)
	v_dot2_f32_f16 v5, v0, v9, v5
	v_dot2_f32_f16 v6, v0, v10, v6
	;; [unrolled: 1-line block ×16, first 2 shown]
	s_waitcnt lgkmcnt(1)
	v_dot2_f32_f16 v50, v0, v13, v50
	v_dot2_f32_f16 v51, v0, v14, v51
	;; [unrolled: 1-line block ×16, first 2 shown]
	ds_read_b128 v[0:3], v7 offset:9728
	s_waitcnt lgkmcnt(1)
	v_dot2_f32_f16 v77, v17, v9, v77
	v_dot2_f32_f16 v76, v17, v10, v76
	;; [unrolled: 1-line block ×16, first 2 shown]
	ds_read_b128 v[9:12], v8 offset:26112
	v_dot2_f32_f16 v57, v17, v13, v57
	v_dot2_f32_f16 v66, v17, v14, v66
	;; [unrolled: 1-line block ×16, first 2 shown]
	ds_read_b128 v[13:16], v8 offset:26368
	ds_read_b128 v[17:20], v7 offset:9984
	s_waitcnt lgkmcnt(2)
	v_dot2_f32_f16 v5, v0, v9, v5
	v_dot2_f32_f16 v6, v0, v10, v6
	;; [unrolled: 1-line block ×16, first 2 shown]
	s_waitcnt lgkmcnt(1)
	v_dot2_f32_f16 v50, v0, v13, v50
	v_dot2_f32_f16 v51, v0, v14, v51
	;; [unrolled: 1-line block ×16, first 2 shown]
	ds_read_b128 v[0:3], v7 offset:10240
	s_waitcnt lgkmcnt(1)
	v_dot2_f32_f16 v77, v17, v9, v77
	v_dot2_f32_f16 v76, v17, v10, v76
	;; [unrolled: 1-line block ×16, first 2 shown]
	ds_read_b128 v[9:12], v8 offset:26624
	v_dot2_f32_f16 v57, v17, v13, v57
	v_dot2_f32_f16 v66, v17, v14, v66
	;; [unrolled: 1-line block ×16, first 2 shown]
	ds_read_b128 v[13:16], v8 offset:26880
	ds_read_b128 v[17:20], v7 offset:10496
	s_waitcnt lgkmcnt(2)
	v_dot2_f32_f16 v5, v0, v9, v5
	v_dot2_f32_f16 v6, v0, v10, v6
	;; [unrolled: 1-line block ×16, first 2 shown]
	s_waitcnt lgkmcnt(1)
	v_dot2_f32_f16 v50, v0, v13, v50
	v_dot2_f32_f16 v51, v0, v14, v51
	;; [unrolled: 1-line block ×16, first 2 shown]
	ds_read_b128 v[0:3], v7 offset:10752
	s_waitcnt lgkmcnt(1)
	v_dot2_f32_f16 v77, v17, v9, v77
	v_dot2_f32_f16 v76, v17, v10, v76
	;; [unrolled: 1-line block ×16, first 2 shown]
	ds_read_b128 v[9:12], v8 offset:27136
	v_dot2_f32_f16 v57, v17, v13, v57
	v_dot2_f32_f16 v66, v17, v14, v66
	;; [unrolled: 1-line block ×16, first 2 shown]
	ds_read_b128 v[13:16], v8 offset:27392
	ds_read_b128 v[17:20], v7 offset:11008
	s_waitcnt lgkmcnt(2)
	v_dot2_f32_f16 v5, v0, v9, v5
	v_dot2_f32_f16 v6, v0, v10, v6
	;; [unrolled: 1-line block ×16, first 2 shown]
	s_waitcnt lgkmcnt(1)
	v_dot2_f32_f16 v50, v0, v13, v50
	v_dot2_f32_f16 v51, v0, v14, v51
	;; [unrolled: 1-line block ×16, first 2 shown]
	ds_read_b128 v[0:3], v7 offset:11264
	s_waitcnt lgkmcnt(1)
	v_dot2_f32_f16 v77, v17, v9, v77
	v_dot2_f32_f16 v76, v17, v10, v76
	;; [unrolled: 1-line block ×16, first 2 shown]
	ds_read_b128 v[9:12], v8 offset:27648
	v_dot2_f32_f16 v57, v17, v13, v57
	v_dot2_f32_f16 v66, v17, v14, v66
	;; [unrolled: 1-line block ×16, first 2 shown]
	ds_read_b128 v[13:16], v8 offset:27904
	ds_read_b128 v[17:20], v7 offset:11520
	s_waitcnt lgkmcnt(2)
	v_dot2_f32_f16 v5, v0, v9, v5
	v_dot2_f32_f16 v6, v0, v10, v6
	;; [unrolled: 1-line block ×16, first 2 shown]
	s_waitcnt lgkmcnt(1)
	v_dot2_f32_f16 v50, v0, v13, v50
	v_dot2_f32_f16 v51, v0, v14, v51
	;; [unrolled: 1-line block ×16, first 2 shown]
	ds_read_b128 v[0:3], v7 offset:11776
	s_waitcnt lgkmcnt(1)
	v_dot2_f32_f16 v77, v17, v9, v77
	v_dot2_f32_f16 v76, v17, v10, v76
	;; [unrolled: 1-line block ×16, first 2 shown]
	ds_read_b128 v[9:12], v8 offset:28160
	v_dot2_f32_f16 v57, v17, v13, v57
	v_dot2_f32_f16 v66, v17, v14, v66
	;; [unrolled: 1-line block ×16, first 2 shown]
	ds_read_b128 v[13:16], v8 offset:28416
	ds_read_b128 v[17:20], v7 offset:12032
	s_waitcnt lgkmcnt(2)
	v_dot2_f32_f16 v5, v0, v9, v5
	v_dot2_f32_f16 v6, v0, v10, v6
	;; [unrolled: 1-line block ×16, first 2 shown]
	s_waitcnt lgkmcnt(1)
	v_dot2_f32_f16 v50, v0, v13, v50
	v_dot2_f32_f16 v51, v0, v14, v51
	;; [unrolled: 1-line block ×16, first 2 shown]
	ds_read_b128 v[0:3], v7 offset:12288
	s_waitcnt lgkmcnt(1)
	v_dot2_f32_f16 v77, v17, v9, v77
	v_dot2_f32_f16 v76, v17, v10, v76
	;; [unrolled: 1-line block ×16, first 2 shown]
	ds_read_b128 v[9:12], v8 offset:28672
	v_dot2_f32_f16 v57, v17, v13, v57
	v_dot2_f32_f16 v66, v17, v14, v66
	;; [unrolled: 1-line block ×16, first 2 shown]
	ds_read_b128 v[13:16], v8 offset:28928
	ds_read_b128 v[17:20], v7 offset:12544
	s_waitcnt lgkmcnt(2)
	v_dot2_f32_f16 v5, v0, v9, v5
	v_dot2_f32_f16 v6, v0, v10, v6
	;; [unrolled: 1-line block ×16, first 2 shown]
	s_waitcnt lgkmcnt(1)
	v_dot2_f32_f16 v50, v0, v13, v50
	v_dot2_f32_f16 v51, v0, v14, v51
	;; [unrolled: 1-line block ×16, first 2 shown]
	ds_read_b128 v[0:3], v7 offset:12800
	s_waitcnt lgkmcnt(1)
	v_dot2_f32_f16 v77, v17, v9, v77
	v_dot2_f32_f16 v76, v17, v10, v76
	;; [unrolled: 1-line block ×16, first 2 shown]
	ds_read_b128 v[9:12], v8 offset:29184
	v_dot2_f32_f16 v57, v17, v13, v57
	v_dot2_f32_f16 v66, v17, v14, v66
	;; [unrolled: 1-line block ×16, first 2 shown]
	ds_read_b128 v[13:16], v8 offset:29440
	ds_read_b128 v[17:20], v7 offset:13056
	s_waitcnt lgkmcnt(2)
	v_dot2_f32_f16 v5, v0, v9, v5
	v_dot2_f32_f16 v6, v0, v10, v6
	;; [unrolled: 1-line block ×16, first 2 shown]
	s_waitcnt lgkmcnt(1)
	v_dot2_f32_f16 v50, v0, v13, v50
	v_dot2_f32_f16 v51, v0, v14, v51
	;; [unrolled: 1-line block ×16, first 2 shown]
	ds_read_b128 v[0:3], v7 offset:13312
	s_waitcnt lgkmcnt(1)
	v_dot2_f32_f16 v77, v17, v9, v77
	v_dot2_f32_f16 v76, v17, v10, v76
	;; [unrolled: 1-line block ×16, first 2 shown]
	ds_read_b128 v[9:12], v8 offset:29696
	v_dot2_f32_f16 v57, v17, v13, v57
	v_dot2_f32_f16 v66, v17, v14, v66
	v_dot2_f32_f16 v64, v17, v15, v64
	v_dot2_f32_f16 v33, v17, v16, v33
	v_dot2_f32_f16 v61, v18, v13, v61
	v_dot2_f32_f16 v60, v18, v14, v60
	v_dot2_f32_f16 v59, v18, v15, v59
	v_dot2_f32_f16 v34, v18, v16, v34
	v_dot2_f32_f16 v37, v19, v13, v37
	v_dot2_f32_f16 v55, v19, v14, v55
	v_dot2_f32_f16 v54, v19, v15, v54
	v_dot2_f32_f16 v35, v19, v16, v35
	v_dot2_f32_f16 v25, v20, v13, v25
	v_dot2_f32_f16 v26, v20, v14, v26
	v_dot2_f32_f16 v4, v20, v15, v4
	v_dot2_f32_f16 v27, v20, v16, v27
	ds_read_b128 v[13:16], v8 offset:29952
	ds_read_b128 v[17:20], v7 offset:13568
	s_waitcnt lgkmcnt(2)
	v_dot2_f32_f16 v5, v0, v9, v5
	v_dot2_f32_f16 v6, v0, v10, v6
	;; [unrolled: 1-line block ×16, first 2 shown]
	s_waitcnt lgkmcnt(1)
	v_dot2_f32_f16 v50, v0, v13, v50
	v_dot2_f32_f16 v51, v0, v14, v51
	;; [unrolled: 1-line block ×16, first 2 shown]
	ds_read_b128 v[0:3], v7 offset:13824
	s_waitcnt lgkmcnt(1)
	v_dot2_f32_f16 v77, v17, v9, v77
	v_dot2_f32_f16 v76, v17, v10, v76
	;; [unrolled: 1-line block ×16, first 2 shown]
	ds_read_b128 v[9:12], v8 offset:30208
	v_dot2_f32_f16 v57, v17, v13, v57
	v_dot2_f32_f16 v66, v17, v14, v66
	;; [unrolled: 1-line block ×16, first 2 shown]
	ds_read_b128 v[13:16], v8 offset:30464
	ds_read_b128 v[17:20], v7 offset:14080
	s_waitcnt lgkmcnt(2)
	v_dot2_f32_f16 v5, v0, v9, v5
	v_dot2_f32_f16 v6, v0, v10, v6
	;; [unrolled: 1-line block ×16, first 2 shown]
	s_waitcnt lgkmcnt(1)
	v_dot2_f32_f16 v50, v0, v13, v50
	v_dot2_f32_f16 v51, v0, v14, v51
	;; [unrolled: 1-line block ×16, first 2 shown]
	ds_read_b128 v[0:3], v7 offset:14336
	s_waitcnt lgkmcnt(1)
	v_dot2_f32_f16 v77, v17, v9, v77
	v_dot2_f32_f16 v76, v17, v10, v76
	;; [unrolled: 1-line block ×16, first 2 shown]
	ds_read_b128 v[9:12], v8 offset:30720
	v_dot2_f32_f16 v57, v17, v13, v57
	v_dot2_f32_f16 v66, v17, v14, v66
	;; [unrolled: 1-line block ×16, first 2 shown]
	ds_read_b128 v[13:16], v8 offset:30976
	ds_read_b128 v[17:20], v7 offset:14592
	s_waitcnt lgkmcnt(2)
	v_dot2_f32_f16 v5, v0, v9, v5
	v_dot2_f32_f16 v6, v0, v10, v6
	;; [unrolled: 1-line block ×16, first 2 shown]
	s_waitcnt lgkmcnt(1)
	v_dot2_f32_f16 v50, v0, v13, v50
	v_dot2_f32_f16 v51, v0, v14, v51
	;; [unrolled: 1-line block ×16, first 2 shown]
	ds_read_b128 v[0:3], v7 offset:14848
	s_waitcnt lgkmcnt(1)
	v_dot2_f32_f16 v77, v17, v9, v77
	v_dot2_f32_f16 v76, v17, v10, v76
	;; [unrolled: 1-line block ×16, first 2 shown]
	ds_read_b128 v[9:12], v8 offset:31232
	v_dot2_f32_f16 v57, v17, v13, v57
	v_dot2_f32_f16 v66, v17, v14, v66
	;; [unrolled: 1-line block ×16, first 2 shown]
	ds_read_b128 v[13:16], v8 offset:31488
	ds_read_b128 v[17:20], v7 offset:15104
	s_waitcnt lgkmcnt(2)
	v_dot2_f32_f16 v5, v0, v9, v5
	v_dot2_f32_f16 v6, v0, v10, v6
	;; [unrolled: 1-line block ×16, first 2 shown]
	s_waitcnt lgkmcnt(1)
	v_dot2_f32_f16 v50, v0, v13, v50
	v_dot2_f32_f16 v51, v0, v14, v51
	;; [unrolled: 1-line block ×16, first 2 shown]
	ds_read_b128 v[0:3], v7 offset:15360
	s_waitcnt lgkmcnt(1)
	v_dot2_f32_f16 v77, v17, v9, v77
	v_dot2_f32_f16 v76, v17, v10, v76
	v_dot2_f32_f16 v75, v17, v11, v75
	v_dot2_f32_f16 v74, v17, v12, v74
	v_dot2_f32_f16 v73, v18, v9, v73
	v_dot2_f32_f16 v72, v18, v10, v72
	v_dot2_f32_f16 v71, v18, v11, v71
	v_dot2_f32_f16 v70, v18, v12, v70
	v_dot2_f32_f16 v69, v19, v9, v69
	v_dot2_f32_f16 v67, v19, v10, v67
	v_dot2_f32_f16 v65, v19, v11, v65
	v_dot2_f32_f16 v63, v19, v12, v63
	v_dot2_f32_f16 v29, v20, v9, v29
	v_dot2_f32_f16 v30, v20, v10, v30
	v_dot2_f32_f16 v31, v20, v11, v31
	v_dot2_f32_f16 v32, v20, v12, v32
	ds_read_b128 v[9:12], v8 offset:31744
	v_dot2_f32_f16 v57, v17, v13, v57
	v_dot2_f32_f16 v66, v17, v14, v66
	;; [unrolled: 1-line block ×16, first 2 shown]
	ds_read_b128 v[13:16], v8 offset:32000
	ds_read_b128 v[17:20], v7 offset:15616
	s_waitcnt lgkmcnt(2)
	v_dot2_f32_f16 v5, v0, v9, v5
	v_dot2_f32_f16 v6, v0, v10, v6
	;; [unrolled: 1-line block ×16, first 2 shown]
	s_waitcnt lgkmcnt(1)
	v_dot2_f32_f16 v50, v0, v13, v50
	v_dot2_f32_f16 v51, v0, v14, v51
	;; [unrolled: 1-line block ×16, first 2 shown]
	ds_read_b128 v[0:3], v7 offset:15872
	ds_read_b128 v[44:47], v8 offset:32256
	s_waitcnt lgkmcnt(2)
	v_dot2_f32_f16 v97, v19, v12, v63
	v_dot2_f32_f16 v101, v17, v15, v64
	;; [unrolled: 1-line block ×6, first 2 shown]
	ds_read_b128 v[52:55], v8 offset:32512
	ds_read_b128 v[61:64], v7 offset:16128
	buffer_load_dword v4, off, s[76:79], 0 offset:148 ; 4-byte Folded Reload
	s_waitcnt lgkmcnt(2)
	v_dot2_f32_f16 v114, v0, v44, v5
	buffer_load_dword v5, off, s[76:79], 0 offset:144 ; 4-byte Folded Reload
	v_dot2_f32_f16 v100, v20, v11, v31
	v_dot2_f32_f16 v105, v18, v16, v34
	;; [unrolled: 1-line block ×15, first 2 shown]
	s_lshl_b32 s6, s53, 6
	s_waitcnt lgkmcnt(0)
	v_dot2_f32_f16 v8, v63, v46, v65
	v_dot2_f32_f16 v77, v17, v9, v77
	;; [unrolled: 1-line block ×61, first 2 shown]
	s_waitcnt vmcnt(1)
	v_lshl_or_b32 v31, s29, 7, v4
	v_mul_lo_u32 v4, v31, s52
	s_waitcnt vmcnt(0)
	v_lshl_add_u32 v34, s31, 7, v5
	s_and_b32 s29, s15, 0xffff
	s_mov_b32 s31, 0x20000
	v_mad_u64_u32 v[4:5], s[0:1], v34, s53, v[4:5]
	v_cmp_gt_i32_e32 vcc, s66, v34
	v_cmp_gt_i32_e64 s[2:3], s37, v31
	v_lshlrev_b32_e32 v5, 1, v4
	buffer_load_dwordx2 v[20:21], v5, s[28:31], 0 offen
	v_add_u32_e32 v6, s52, v4
	v_add_u32_e32 v65, s52, v6
	v_lshlrev_b32_e32 v0, 1, v6
	v_lshlrev_b32_e32 v2, 1, v65
	v_add_lshl_u32 v12, v65, s6, 1
	v_add_u32_e32 v45, s52, v65
	buffer_load_dwordx2 v[70:71], v0, s[28:31], 0 offen
	buffer_load_dwordx2 v[82:83], v2, s[28:31], 0 offen
	;; [unrolled: 1-line block ×3, first 2 shown]
	v_add_lshl_u32 v0, v6, s6, 1
	v_add_lshl_u32 v53, v45, s6, 1
	buffer_load_dwordx2 v[88:89], v53, s[28:31], 0 offen
	buffer_load_dwordx2 v[77:78], v0, s[28:31], 0 offen
	v_add_lshl_u32 v5, v4, s6, 1
	buffer_load_dwordx2 v[48:49], v5, s[28:31], 0 offen
	v_dot2_f32_f16 v5, v62, v47, v96
	v_lshlrev_b32_e32 v47, 1, v45
	buffer_load_dwordx2 v[86:87], v47, s[28:31], 0 offen
	s_and_b64 s[0:1], s[2:3], vcc
	v_dot2_f32_f16 v0, v61, v46, v75
	v_dot2_f32_f16 v4, v62, v46, v95
	;; [unrolled: 1-line block ×5, first 2 shown]
	v_or_b32_e32 v59, 1, v31
	v_dot2_f32_f16 v16, v3, v54, v81
	v_dot2_f32_f16 v17, v3, v55, v94
	v_dot2_f32_f16 v3, v61, v55, v102
	v_dot2_f32_f16 v7, v62, v55, v105
	v_dot2_f32_f16 v2, v61, v54, v101
	s_mov_b32 s19, s31
	s_waitcnt vmcnt(7)
	v_cndmask_b32_e64 v73, 0, v21, s[0:1]
	v_cndmask_b32_e64 v21, 0, v20, s[0:1]
	v_cvt_f32_f16_e32 v47, v21
	v_cvt_f32_f16_sdwa v52, v21 dst_sel:DWORD dst_unused:UNUSED_PAD src0_sel:WORD_1
	v_dot2_f32_f16 v21, v64, v55, v113
	v_dot2_f32_f16 v20, v64, v54, v112
	v_add_f32_e32 v47, v114, v47
	v_max_f32_e32 v75, 0, v47
	v_add_f32_e32 v47, v115, v52
	v_add_u32_e32 v52, 64, v34
	v_cmp_gt_i32_e64 s[0:1], s66, v52
	s_and_b64 s[2:3], s[2:3], s[0:1]
	v_max_f32_e32 v80, 0, v47
	s_waitcnt vmcnt(1)
	v_cndmask_b32_e64 v63, 0, v49, s[2:3]
	v_cndmask_b32_e64 v49, 0, v48, s[2:3]
	v_cvt_f32_f16_e32 v53, v49
	v_mad_u64_u32 v[47:48], s[2:3], s52, 61, v[45:46]
	v_cmp_gt_i32_e64 s[2:3], s37, v59
	v_add_f32_e32 v45, v119, v53
	v_cvt_f32_f16_sdwa v53, v49 dst_sel:DWORD dst_unused:UNUSED_PAD src0_sel:WORD_1
	v_max_f32_e32 v74, 0, v45
	v_lshlrev_b32_e32 v45, 1, v47
	buffer_load_dwordx2 v[48:49], v45, s[28:31], 0 offen
	s_and_b64 s[4:5], s[2:3], vcc
	v_add_lshl_u32 v57, v47, s6, 1
	buffer_load_dwordx2 v[90:91], v57, s[28:31], 0 offen
	v_add_f32_e32 v45, v120, v53
	v_cndmask_b32_e64 v53, 0, v70, s[4:5]
	v_cvt_f32_f16_e32 v55, v53
	v_max_f32_e32 v81, 0, v45
	s_and_b64 s[2:3], s[2:3], s[0:1]
	v_add_u32_e32 v47, s52, v47
	v_add_f32_e32 v45, v116, v55
	v_max_f32_e32 v62, 0, v45
	v_cvt_f32_f16_sdwa v45, v53 dst_sel:DWORD dst_unused:UNUSED_PAD src0_sel:WORD_1
	v_cndmask_b32_e64 v53, 0, v77, s[2:3]
	v_cvt_f32_f16_e32 v55, v53
	v_lshlrev_b32_e32 v57, 1, v47
	buffer_load_dwordx2 v[92:93], v57, s[28:31], 0 offen
	v_add_f32_e32 v45, v117, v45
	v_max_f32_e32 v72, 0, v45
	v_add_f32_e32 v45, v121, v55
	v_cvt_f32_f16_sdwa v53, v53 dst_sel:DWORD dst_unused:UNUSED_PAD src0_sel:WORD_1
	v_or_b32_e32 v55, 2, v31
	v_cndmask_b32_e64 v76, 0, v78, s[2:3]
	v_cmp_gt_i32_e64 s[2:3], s37, v55
	v_add_lshl_u32 v57, v47, s6, 1
	v_cndmask_b32_e64 v54, 0, v71, s[4:5]
	buffer_load_dwordx2 v[94:95], v57, s[28:31], 0 offen
	s_and_b64 s[4:5], s[2:3], vcc
	v_cndmask_b32_e64 v57, 0, v82, s[4:5]
	v_max_f32_e32 v99, 0, v45
	v_add_f32_e32 v45, v122, v53
	v_cvt_f32_f16_sdwa v53, v57 dst_sel:DWORD dst_unused:UNUSED_PAD src0_sel:WORD_1
	v_cvt_f32_f16_e32 v61, v57
	v_add_u32_e32 v47, s52, v47
	v_max_f32_e32 v100, 0, v45
	v_add_f32_e32 v36, v36, v53
	v_add_f32_e32 v45, v118, v61
	v_lshlrev_b32_e32 v57, 1, v47
	s_and_b64 s[2:3], s[2:3], s[0:1]
	v_max_f32_e32 v79, 0, v36
	v_add_lshl_u32 v36, v47, s6, 1
	v_cndmask_b32_e64 v67, 0, v83, s[4:5]
	buffer_load_dwordx2 v[96:97], v57, s[28:31], 0 offen
	v_max_f32_e32 v78, 0, v45
	v_cndmask_b32_e64 v45, 0, v84, s[2:3]
	buffer_load_dwordx2 v[83:84], v36, s[28:31], 0 offen
	v_or_b32_e32 v57, 3, v31
	v_cndmask_b32_e64 v65, 0, v85, s[2:3]
	v_cmp_gt_i32_e64 s[2:3], s37, v57
	v_add_u32_e32 v47, s52, v47
	s_and_b64 s[4:5], s[2:3], vcc
	v_lshlrev_b32_e32 v70, 1, v47
	v_cvt_f32_f16_e32 v53, v45
	s_waitcnt vmcnt(6)
	v_cndmask_b32_e64 v61, 0, v86, s[4:5]
	buffer_load_dwordx2 v[85:86], v70, s[28:31], 0 offen
	v_cvt_f32_f16_sdwa v45, v45 dst_sel:DWORD dst_unused:UNUSED_PAD src0_sel:WORD_1
	v_add_f32_e32 v36, v123, v53
	s_and_b64 s[2:3], s[2:3], s[0:1]
	v_add_lshl_u32 v47, v47, s6, 1
	v_cndmask_b32_e64 v53, 0, v87, s[4:5]
	v_max_f32_e32 v82, 0, v36
	v_add_f32_e32 v36, v124, v45
	v_cndmask_b32_e64 v45, 0, v88, s[2:3]
	buffer_load_dwordx2 v[87:88], v47, s[28:31], 0 offen
	v_max_f32_e32 v101, 0, v36
	v_cvt_f32_f16_sdwa v36, v61 dst_sel:DWORD dst_unused:UNUSED_PAD src0_sel:WORD_1
	v_cvt_f32_f16_e32 v47, v45
	v_cndmask_b32_e64 v77, 0, v89, s[2:3]
	v_cvt_f32_f16_e32 v64, v61
	v_add_f32_e32 v26, v26, v36
	v_max_f32_e32 v71, 0, v26
	v_or_b32_e32 v26, 64, v31
	v_cmp_gt_i32_e64 s[2:3], s37, v26
	s_and_b64 s[4:5], s[2:3], vcc
	v_cvt_f32_f16_sdwa v36, v45 dst_sel:DWORD dst_unused:UNUSED_PAD src0_sel:WORD_1
	v_add_f32_e32 v35, v35, v47
	s_and_b64 s[2:3], s[2:3], s[0:1]
	v_add_f32_e32 v27, v27, v64
	v_add_f32_e32 v28, v28, v36
	v_max_f32_e32 v102, 0, v28
	s_waitcnt vmcnt(7)
	v_cndmask_b32_e64 v45, 0, v48, s[4:5]
	v_cvt_f32_f16_e32 v47, v45
	v_max_f32_e32 v89, 0, v35
	s_waitcnt vmcnt(6)
	v_cndmask_b32_e64 v35, 0, v91, s[2:3]
	v_cndmask_b32_e64 v36, 0, v90, s[2:3]
	v_add_f32_e32 v28, v29, v47
	v_cvt_f32_f16_sdwa v29, v45 dst_sel:DWORD dst_unused:UNUSED_PAD src0_sel:WORD_1
	v_max_f32_e32 v70, 0, v27
	v_cndmask_b32_e64 v27, 0, v49, s[4:5]
	v_cvt_f32_f16_e32 v45, v36
	v_add_f32_e32 v29, v30, v29
	v_add_u32_e32 v30, 0x41, v31
	v_cmp_gt_i32_e64 s[2:3], s37, v30
	s_and_b64 s[4:5], s[2:3], vcc
	v_cvt_f32_f16_sdwa v48, v36 dst_sel:DWORD dst_unused:UNUSED_PAD src0_sel:WORD_1
	s_and_b64 s[2:3], s[2:3], s[0:1]
	s_waitcnt vmcnt(5)
	v_cndmask_b32_e64 v49, 0, v92, s[4:5]
	v_cvt_f32_f16_e32 v61, v49
	v_add_f32_e32 v47, v98, v45
	v_add_f32_e32 v37, v37, v48
	v_cvt_f32_f16_sdwa v48, v49 dst_sel:DWORD dst_unused:UNUSED_PAD src0_sel:WORD_1
	v_max_f32_e32 v36, 0, v47
	v_add_f32_e32 v47, v42, v61
	v_cndmask_b32_e64 v45, 0, v93, s[4:5]
	v_add_f32_e32 v43, v43, v48
	v_max_f32_e32 v48, 0, v43
	s_waitcnt vmcnt(4)
	v_cndmask_b32_e64 v49, 0, v94, s[2:3]
	v_cvt_f32_f16_e32 v61, v49
	v_cndmask_b32_e64 v42, 0, v95, s[2:3]
	v_max_f32_e32 v47, 0, v47
	v_max_f32_e32 v37, 0, v37
	v_add_f32_e32 v43, v46, v61
	v_cvt_f32_f16_sdwa v61, v49 dst_sel:DWORD dst_unused:UNUSED_PAD src0_sel:WORD_1
	v_add_u32_e32 v46, 0x42, v31
	v_cmp_gt_i32_e64 s[2:3], s37, v46
	s_and_b64 s[4:5], s[2:3], vcc
	s_and_b64 s[2:3], s[2:3], s[0:1]
	v_add_f32_e32 v44, v44, v61
	v_max_f32_e32 v43, 0, v43
	v_max_f32_e32 v44, 0, v44
	;; [unrolled: 1-line block ×4, first 2 shown]
	s_waitcnt vmcnt(3)
	v_cndmask_b32_e64 v64, 0, v96, s[4:5]
	v_cvt_f32_f16_e32 v90, v64
	v_cvt_f32_f16_sdwa v64, v64 dst_sel:DWORD dst_unused:UNUSED_PAD src0_sel:WORD_1
	s_waitcnt vmcnt(2)
	v_cndmask_b32_e64 v83, 0, v83, s[2:3]
	v_cndmask_b32_e64 v61, 0, v84, s[2:3]
	v_cvt_f32_f16_e32 v84, v83
	v_add_f32_e32 v51, v51, v64
	v_cvt_f32_f16_sdwa v83, v83 dst_sel:DWORD dst_unused:UNUSED_PAD src0_sel:WORD_1
	v_cndmask_b32_e64 v49, 0, v97, s[4:5]
	v_add_f32_e32 v64, v58, v84
	v_add_u32_e32 v58, 0x43, v31
	v_cmp_gt_i32_e64 s[2:3], s37, v58
	s_and_b64 vcc, s[2:3], vcc
	s_waitcnt vmcnt(1)
	v_cndmask_b32_e32 v85, 0, v85, vcc
	v_cndmask_b32_e32 v84, 0, v86, vcc
	v_cvt_f32_f16_e32 v86, v85
	v_cvt_f32_f16_sdwa v85, v85 dst_sel:DWORD dst_unused:UNUSED_PAD src0_sel:WORD_1
	s_and_b64 vcc, s[2:3], s[0:1]
	v_add_f32_e32 v66, v66, v83
	v_add_f32_e32 v56, v56, v86
	;; [unrolled: 1-line block ×3, first 2 shown]
	s_waitcnt vmcnt(0)
	v_cndmask_b32_e32 v86, 0, v87, vcc
	v_cvt_f32_f16_e32 v87, v86
	v_cvt_f32_f16_sdwa v85, v86 dst_sel:DWORD dst_unused:UNUSED_PAD src0_sel:WORD_1
	v_max_f32_e32 v86, 0, v60
	v_max_f32_e32 v83, 0, v56
	v_add_f32_e32 v60, v69, v87
	v_max_f32_e32 v87, 0, v60
	v_add_f32_e32 v60, v68, v85
	v_cvt_f32_f16_sdwa v68, v73 dst_sel:DWORD dst_unused:UNUSED_PAD src0_sel:WORD_1
	v_cvt_f32_f16_e32 v69, v73
	v_max_f32_e32 v85, 0, v60
	v_mul_lo_u32 v60, v31, s34
	v_add_f32_e32 v41, v41, v68
	v_add_f32_e32 v40, v40, v69
	v_max_f32_e32 v40, 0, v40
	v_max_f32_e32 v41, 0, v41
	v_cvt_f16_f32_e32 v73, v75
	v_cvt_f16_f32_e32 v75, v80
	;; [unrolled: 1-line block ×4, first 2 shown]
	v_mad_u64_u32 v[40:41], s[0:1], v34, s35, v[60:61]
	v_cndmask_b32_e32 v56, 0, v88, vcc
	v_cmp_gt_i32_e32 vcc, s39, v34
	v_cmp_gt_i32_e64 s[2:3], s33, v31
	v_bfrev_b32_e32 v31, 1
	s_and_b64 s[0:1], s[2:3], vcc
	v_cndmask_b32_e64 v34, v31, 0, s[0:1]
	v_pack_b32_f16 v68, v73, v75
	v_pack_b32_f16 v69, v80, v69
	v_lshl_add_u32 v34, v40, 1, v34
	buffer_store_dwordx2 v[68:69], v34, s[16:19], 0 offen
	v_cvt_f32_f16_sdwa v34, v63 dst_sel:DWORD dst_unused:UNUSED_PAD src0_sel:WORD_1
	v_cvt_f32_f16_e32 v41, v63
	v_cvt_f16_f32_e32 v60, v74
	v_cvt_f16_f32_e32 v63, v81
	v_add_f32_e32 v34, v39, v34
	v_add_f32_e32 v38, v38, v41
	v_max_f32_e32 v38, 0, v38
	v_max_f32_e32 v34, 0, v34
	v_cvt_f16_f32_e32 v34, v34
	v_cvt_f16_f32_e32 v39, v38
	v_pack_b32_f16 v38, v60, v63
	v_cmp_gt_i32_e64 s[0:1], s39, v52
	v_cvt_f32_f16_sdwa v52, v76 dst_sel:DWORD dst_unused:UNUSED_PAD src0_sel:WORD_1
	v_cvt_f32_f16_e32 v60, v76
	s_lshl_b32 s4, s35, 6
	s_and_b64 s[2:3], s[2:3], s[0:1]
	v_add_u32_e32 v41, s4, v40
	v_pack_b32_f16 v39, v39, v34
	v_cndmask_b32_e64 v34, v31, 0, s[2:3]
	v_lshl_add_u32 v34, v41, 1, v34
	v_add_f32_e32 v33, v33, v52
	v_add_f32_e32 v32, v32, v60
	buffer_store_dwordx2 v[38:39], v34, s[16:19], 0 offen
	v_add_u32_e32 v34, s34, v41
	v_cvt_f32_f16_sdwa v39, v54 dst_sel:DWORD dst_unused:UNUSED_PAD src0_sel:WORD_1
	v_cvt_f32_f16_e32 v41, v54
	v_max_f32_e32 v32, 0, v32
	v_max_f32_e32 v33, 0, v33
	v_cvt_f16_f32_e32 v33, v33
	v_cvt_f16_f32_e32 v52, v32
	;; [unrolled: 1-line block ×4, first 2 shown]
	v_add_f32_e32 v25, v25, v39
	v_add_f32_e32 v24, v24, v41
	v_cmp_gt_i32_e64 s[2:3], s33, v59
	v_max_f32_e32 v24, 0, v24
	v_max_f32_e32 v25, 0, v25
	v_pack_b32_f16 v33, v52, v33
	s_and_b64 s[6:7], s[2:3], s[0:1]
	v_cvt_f16_f32_e32 v52, v62
	v_cvt_f16_f32_e32 v54, v72
	;; [unrolled: 1-line block ×4, first 2 shown]
	v_cndmask_b32_e64 v38, v31, 0, s[6:7]
	v_pack_b32_f16 v32, v63, v68
	v_lshl_add_u32 v38, v34, 1, v38
	s_and_b64 s[2:3], s[2:3], vcc
	buffer_store_dwordx2 v[32:33], v38, s[16:19], 0 offen
	v_add_u32_e32 v32, s34, v40
	v_cndmask_b32_e64 v33, v31, 0, s[2:3]
	v_cmp_gt_i32_e64 s[2:3], s33, v55
	v_pack_b32_f16 v24, v52, v54
	v_pack_b32_f16 v25, v39, v25
	v_lshl_add_u32 v33, v32, 1, v33
	s_and_b64 s[6:7], s[2:3], vcc
	v_cvt_f32_f16_sdwa v38, v67 dst_sel:DWORD dst_unused:UNUSED_PAD src0_sel:WORD_1
	v_cvt_f32_f16_e32 v39, v67
	buffer_store_dwordx2 v[24:25], v33, s[16:19], 0 offen
	v_add_u32_e32 v24, s34, v32
	v_cndmask_b32_e64 v25, v31, 0, s[6:7]
	v_lshl_add_u32 v24, v24, 1, v25
	v_cvt_f32_f16_sdwa v25, v65 dst_sel:DWORD dst_unused:UNUSED_PAD src0_sel:WORD_1
	v_cvt_f32_f16_e32 v32, v65
	v_add_f32_e32 v19, v19, v38
	v_add_f32_e32 v18, v18, v39
	v_max_f32_e32 v18, 0, v18
	v_max_f32_e32 v19, 0, v19
	v_add_f32_e32 v23, v23, v25
	v_add_f32_e32 v22, v22, v32
	v_cvt_f16_f32_e32 v40, v78
	v_cvt_f16_f32_e32 v41, v79
	v_cvt_f16_f32_e32 v19, v19
	v_cvt_f16_f32_e32 v38, v18
	v_max_f32_e32 v22, 0, v22
	v_max_f32_e32 v23, 0, v23
	v_cvt_f16_f32_e32 v23, v23
	v_cvt_f16_f32_e32 v22, v22
	v_pack_b32_f16 v18, v40, v41
	v_pack_b32_f16 v19, v38, v19
	buffer_store_dwordx2 v[18:19], v24, s[16:19], 0 offen
	v_pack_b32_f16 v19, v22, v23
	v_cvt_f32_f16_sdwa v23, v77 dst_sel:DWORD dst_unused:UNUSED_PAD src0_sel:WORD_1
	v_cvt_f32_f16_e32 v25, v77
	v_cvt_f16_f32_e32 v33, v82
	v_cvt_f16_f32_e32 v38, v101
	v_add_f32_e32 v17, v17, v23
	v_add_f32_e32 v16, v16, v25
	v_max_f32_e32 v16, 0, v16
	v_max_f32_e32 v17, 0, v17
	v_cvt_f16_f32_e32 v17, v17
	v_cvt_f16_f32_e32 v23, v16
	s_and_b64 s[2:3], s[2:3], s[0:1]
	v_add_u32_e32 v24, s34, v34
	v_cndmask_b32_e64 v22, v31, 0, s[2:3]
	v_pack_b32_f16 v18, v33, v38
	v_lshl_add_u32 v22, v24, 1, v22
	buffer_store_dwordx2 v[18:19], v22, s[16:19], 0 offen
	v_pack_b32_f16 v17, v23, v17
	v_cvt_f32_f16_sdwa v22, v53 dst_sel:DWORD dst_unused:UNUSED_PAD src0_sel:WORD_1
	v_cvt_f32_f16_e32 v23, v53
	v_cvt_f16_f32_e32 v32, v89
	v_cvt_f16_f32_e32 v33, v102
	v_add_f32_e32 v11, v11, v22
	v_add_f32_e32 v10, v10, v23
	v_cmp_gt_i32_e64 s[2:3], s33, v57
	v_max_f32_e32 v10, 0, v10
	v_max_f32_e32 v11, 0, v11
	v_pack_b32_f16 v16, v32, v33
	s_and_b64 s[6:7], s[2:3], s[0:1]
	v_cvt_f16_f32_e32 v25, v70
	v_cvt_f16_f32_e32 v32, v71
	;; [unrolled: 1-line block ×4, first 2 shown]
	v_add_u32_e32 v18, s34, v24
	v_cndmask_b32_e64 v19, v31, 0, s[6:7]
	v_lshl_add_u32 v19, v18, 1, v19
	s_and_b64 s[2:3], s[2:3], vcc
	buffer_store_dwordx2 v[16:17], v19, s[16:19], 0 offen
	v_subrev_u32_e32 v16, s4, v18
	v_cndmask_b32_e64 v17, v31, 0, s[2:3]
	v_pack_b32_f16 v10, v25, v32
	v_pack_b32_f16 v11, v22, v11
	v_lshl_add_u32 v17, v16, 1, v17
	buffer_store_dwordx2 v[10:11], v17, s[16:19], 0 offen
	v_cvt_f32_f16_sdwa v10, v84 dst_sel:DWORD dst_unused:UNUSED_PAD src0_sel:WORD_1
	v_cvt_f32_f16_e32 v11, v84
	v_cmp_gt_i32_e64 s[2:3], s33, v58
	s_lshl_b32 s5, s34, 6
	v_add_f32_e32 v10, v15, v10
	v_add_f32_e32 v11, v14, v11
	v_max_f32_e32 v11, 0, v11
	v_max_f32_e32 v10, 0, v10
	v_cvt_f16_f32_e32 v14, v10
	v_cvt_f16_f32_e32 v11, v11
	s_and_b64 s[6:7], s[2:3], vcc
	v_add_u32_e32 v15, s5, v16
	v_cvt_f32_f16_e32 v16, v56
	v_pack_b32_f16 v11, v11, v14
	v_cndmask_b32_e64 v14, v31, 0, s[6:7]
	v_lshl_add_u32 v14, v15, 1, v14
	v_cvt_f32_f16_sdwa v15, v56 dst_sel:DWORD dst_unused:UNUSED_PAD src0_sel:WORD_1
	v_add_f32_e32 v16, v20, v16
	v_cvt_f16_f32_e32 v17, v83
	v_cvt_f16_f32_e32 v19, v86
	v_add_f32_e32 v15, v21, v15
	v_max_f32_e32 v16, 0, v16
	v_max_f32_e32 v15, 0, v15
	v_cvt_f16_f32_e32 v15, v15
	v_cvt_f16_f32_e32 v16, v16
	v_pack_b32_f16 v10, v17, v19
	s_and_b64 s[2:3], s[2:3], s[0:1]
	buffer_store_dwordx2 v[10:11], v14, s[16:19], 0 offen
	v_add_u32_e32 v14, s5, v18
	v_pack_b32_f16 v11, v16, v15
	v_cndmask_b32_e64 v15, v31, 0, s[2:3]
	v_lshl_add_u32 v14, v14, 1, v15
	v_cvt_f32_f16_sdwa v15, v61 dst_sel:DWORD dst_unused:UNUSED_PAD src0_sel:WORD_1
	v_cvt_f32_f16_e32 v16, v61
	v_cvt_f16_f32_e32 v17, v87
	v_cvt_f16_f32_e32 v19, v85
	v_add_f32_e32 v13, v13, v15
	v_add_f32_e32 v12, v12, v16
	v_max_f32_e32 v12, 0, v12
	v_max_f32_e32 v13, 0, v13
	v_cvt_f16_f32_e32 v13, v13
	v_cvt_f16_f32_e32 v12, v12
	v_pack_b32_f16 v10, v17, v19
	buffer_store_dwordx2 v[10:11], v14, s[16:19], 0 offen
	v_cvt_f32_f16_e32 v15, v49
	v_pack_b32_f16 v11, v12, v13
	v_cvt_f32_f16_sdwa v13, v49 dst_sel:DWORD dst_unused:UNUSED_PAD src0_sel:WORD_1
	v_max_f32_e32 v64, 0, v64
	v_max_f32_e32 v66, 0, v66
	v_cvt_f16_f32_e32 v17, v64
	v_cvt_f16_f32_e32 v18, v66
	v_add_f32_e32 v50, v50, v90
	v_add_f32_e32 v9, v9, v13
	;; [unrolled: 1-line block ×3, first 2 shown]
	v_max_f32_e32 v50, 0, v50
	v_max_f32_e32 v51, 0, v51
	v_cmp_ge_i32_e64 s[2:3], s33, v58
	v_max_f32_e32 v8, 0, v8
	v_max_f32_e32 v9, 0, v9
	v_pack_b32_f16 v10, v17, v18
	s_and_b64 s[2:3], s[2:3], s[0:1]
	v_cvt_f16_f32_e32 v16, v50
	v_cvt_f16_f32_e32 v17, v51
	;; [unrolled: 1-line block ×4, first 2 shown]
	v_add_u32_e32 v14, s5, v24
	v_cndmask_b32_e64 v12, v31, 0, s[2:3]
	v_cmp_gt_i32_e64 s[2:3], s33, v46
	v_lshl_add_u32 v12, v14, 1, v12
	s_and_b64 s[2:3], s[2:3], vcc
	buffer_store_dwordx2 v[10:11], v12, s[16:19], 0 offen
	v_subrev_u32_e32 v10, s4, v14
	v_cndmask_b32_e64 v11, v31, 0, s[2:3]
	v_pack_b32_f16 v8, v16, v17
	v_pack_b32_f16 v9, v13, v9
	v_lshl_add_u32 v11, v10, 1, v11
	v_cvt_f32_f16_sdwa v12, v45 dst_sel:DWORD dst_unused:UNUSED_PAD src0_sel:WORD_1
	v_cvt_f32_f16_e32 v13, v45
	buffer_store_dwordx2 v[8:9], v11, s[16:19], 0 offen
	v_subrev_u32_e32 v8, s34, v10
	v_cvt_f32_f16_sdwa v10, v42 dst_sel:DWORD dst_unused:UNUSED_PAD src0_sel:WORD_1
	v_cvt_f32_f16_e32 v11, v42
	v_add_f32_e32 v5, v5, v12
	v_add_f32_e32 v4, v4, v13
	v_max_f32_e32 v4, 0, v4
	v_max_f32_e32 v5, 0, v5
	v_add_f32_e32 v7, v7, v10
	v_add_f32_e32 v6, v6, v11
	v_cvt_f16_f32_e32 v14, v47
	v_cvt_f16_f32_e32 v15, v48
	;; [unrolled: 1-line block ×4, first 2 shown]
	v_max_f32_e32 v6, 0, v6
	v_max_f32_e32 v7, 0, v7
	v_cmp_ge_i32_e64 s[2:3], s33, v46
	v_cvt_f16_f32_e32 v7, v7
	v_cvt_f16_f32_e32 v6, v6
	s_and_b64 s[2:3], s[2:3], vcc
	v_cndmask_b32_e64 v9, v31, 0, s[2:3]
	v_pack_b32_f16 v4, v14, v15
	v_pack_b32_f16 v5, v12, v5
	v_lshl_add_u32 v9, v8, 1, v9
	buffer_store_dwordx2 v[4:5], v9, s[16:19], 0 offen
	v_pack_b32_f16 v5, v6, v7
	v_cvt_f32_f16_sdwa v7, v35 dst_sel:DWORD dst_unused:UNUSED_PAD src0_sel:WORD_1
	v_cvt_f32_f16_e32 v9, v35
	v_cvt_f16_f32_e32 v12, v43
	v_cvt_f16_f32_e32 v13, v44
	v_add_f32_e32 v3, v3, v7
	v_add_f32_e32 v2, v2, v9
	v_max_f32_e32 v2, 0, v2
	v_max_f32_e32 v3, 0, v3
	v_cmp_gt_i32_e64 s[2:3], s33, v30
	v_cvt_f16_f32_e32 v3, v3
	v_cvt_f16_f32_e32 v7, v2
	s_and_b64 s[2:3], s[2:3], s[0:1]
	v_add_u32_e32 v8, s4, v8
	v_cndmask_b32_e64 v6, v31, 0, s[2:3]
	v_pack_b32_f16 v4, v12, v13
	v_lshl_add_u32 v6, v8, 1, v6
	buffer_store_dwordx2 v[4:5], v6, s[16:19], 0 offen
	v_pack_b32_f16 v3, v7, v3
	v_cvt_f32_f16_sdwa v6, v27 dst_sel:DWORD dst_unused:UNUSED_PAD src0_sel:WORD_1
	v_cvt_f32_f16_e32 v7, v27
	v_cvt_f16_f32_e32 v10, v36
	v_cvt_f16_f32_e32 v11, v37
	v_add_f32_e32 v1, v1, v6
	v_add_f32_e32 v0, v0, v7
	v_cmp_ge_i32_e64 s[2:3], s33, v30
	v_max_f32_e32 v0, 0, v0
	v_max_f32_e32 v1, 0, v1
	v_subrev_u32_e32 v4, s34, v8
	s_and_b64 s[0:1], s[2:3], s[0:1]
	v_cvt_f16_f32_e32 v8, v28
	v_cvt_f16_f32_e32 v9, v29
	v_cvt_f16_f32_e32 v1, v1
	v_cvt_f16_f32_e32 v6, v0
	v_cndmask_b32_e64 v5, v31, 0, s[0:1]
	v_cmp_gt_i32_e64 s[0:1], s33, v26
	v_pack_b32_f16 v2, v10, v11
	v_lshl_add_u32 v5, v4, 1, v5
	s_and_b64 s[0:1], s[0:1], vcc
	buffer_store_dwordx2 v[2:3], v5, s[16:19], 0 offen
	v_subrev_u32_e32 v2, s4, v4
	v_cndmask_b32_e64 v3, v31, 0, s[0:1]
	v_pack_b32_f16 v0, v8, v9
	v_pack_b32_f16 v1, v6, v1
	v_lshl_add_u32 v2, v2, 1, v3
	buffer_store_dwordx2 v[0:1], v2, s[16:19], 0 offen
	s_endpgm
	.section	.rodata,"a",@progbits
	.p2align	6, 0x0
	.amdhsa_kernel _ZN2ck16tensor_operation6device12_GLOBAL__N_137kernel_grouped_conv_fwd_dl_multiple_dINS_32GridwiseGemmDlMultipleD_km_kn_mnILi256EDF16_fNS_5TupleIJDF16_EEEDF16_NS0_12element_wise11PassThroughES8_NS7_7AddReluELNS_25InMemoryDataOperationEnumE0ENS_16TensorDescriptorINS5_IJNS_5EmbedINS5_IJiiiiEEESD_Lb0EEENS_11PassThroughIiEENS_3PadIiiiLb0EEESI_SG_SG_NSC_INS5_IJiiEEESJ_Lb0EEESK_SG_NS_23Merge_v2_magic_divisionINS5_IJiiiEEEEESN_NS_8RightPadIiiLb0EEESP_NS_7UnMergeISJ_Lb0EEESG_EEENS5_IJNS_8SequenceIJLi0EEEENST_IJLi1EEEENST_IJLi2EEEENST_IJLi3EEEENST_IJLi4EEEENST_IJLi5EEEENST_IJLi6EEEENST_IJLi7EEEENST_IJLi8EEEENST_IJLi9ELi11ELi13EEEENST_IJLi10ELi12ELi14EEEENST_IJLi15EEEENST_IJLi16EEEENST_IJLi18EEEENST_IJLi17EEEEEEENS5_IJNST_IJLi1ELi2ELi3ELi4EEEESZ_S10_S11_S12_NST_IJLi9EEEENST_IJLi10ELi11EEEENST_IJLi12ELi13EEEENST_IJLi14EEEES15_S16_S18_S17_NST_IJLi19ELi20EEEENST_IJLi21EEEEEEENST_IJLi19ELi21ELi20EEEElEENSB_INS5_IJSR_SP_SP_SR_SG_EEENS5_IJSU_SV_SW_SY_SX_EEENS5_IJNST_IJLi1ELi2EEEESX_SY_NST_IJLi5ELi6EEEES11_EEENST_IJLi5ELi7ELi6EEEElEENSB_INS5_IJSK_SP_SP_EEENS5_IJSU_SV_SW_EEENS5_IJS1M_SX_SY_EEENST_IJLi3ELi4EEEElEELi128ELi128ELi16ELi2ELi4ELi4ELi1ENST_IJLi8ELi2EEEES1W_NST_IJLi8ELi1ELi1ELi2EEEENST_IJLi2ELi1ELi128ELi1EEEENST_IJLi1ELi2ELi0ELi3EEEES1Z_NST_IJLi4ELi1ELi1ELi2EEEES1Z_NST_IJLi1ELi1ELi1ELi2EEEES1X_S1Y_S1Z_S1Z_S20_S1Z_S21_NST_IJLi0ELi1ELi2ELi3ELi4ELi5EEEELi5ELi4EEEDF16_NS5_IJPKDF16_EEEDF16_S8_S8_S9_NSB_INS5_IJSE_SG_SI_SI_SG_SG_SK_SK_SG_SN_SN_SP_SP_SR_SG_SG_NSQ_INS5_IJiNS_17integral_constantIiLi128EEEEEELb0EEENSF_INS27_IiLi2EEEEEEEENS5_IJSU_SV_SW_SX_SY_SZ_S10_S11_S12_S13_S14_S15_S16_S17_S18_NST_IJLi19EEEES1G_NST_IJLi20EEEEEEENS5_IJS1A_SZ_S10_S11_S12_S1B_S1C_S1D_S1E_S15_S16_S18_S17_S1F_S1G_NST_IJLi22EEEENST_IJLi23ELi24EEEENST_IJLi25EEEEEEENST_IJLi22ELi23ELi24ELi25EEEElEENSB_INS5_IJSR_SP_SP_SR_SG_SG_S2A_S2C_EEENS5_IJSU_SV_SW_SY_SX_SZ_S11_S10_EEENS5_IJS1M_SX_SY_S1N_S11_S12_NST_IJLi9ELi10EEEENST_IJLi11EEEEEEENST_IJLi8ELi9ELi10ELi11EEEElEENS5_IJNSB_INS5_IJSK_SP_SP_NSQ_INS5_IJiS2B_NS27_IiLi64EEEEEELb0EEES2W_EEENS5_IJSU_SV_SW_SX_SY_EEENS5_IJS1M_SX_SY_NST_IJLi5ELi6ELi7EEEENST_IJLi8ELi9ELi10EEEEEEENST_IJLi5ELi6ELi7ELi8ELi9ELi10EEEElEEEEES33_NS_31BlockToCTileMap_M00_N00_M01_N01ILi128ELi128ES1V_Lb0EEENS1_30ComputePtrOffsetOfStridedBatchILi1ELi1ELi1EvEELb1ELb1EEEvPKT0_S3B_T1_PT2_T3_T4_T5_iT6_T7_T8_T9_T10_T11_
		.amdhsa_group_segment_fixed_size 32768
		.amdhsa_private_segment_fixed_size 164
		.amdhsa_kernarg_size 968
		.amdhsa_user_sgpr_count 6
		.amdhsa_user_sgpr_private_segment_buffer 1
		.amdhsa_user_sgpr_dispatch_ptr 0
		.amdhsa_user_sgpr_queue_ptr 0
		.amdhsa_user_sgpr_kernarg_segment_ptr 1
		.amdhsa_user_sgpr_dispatch_id 0
		.amdhsa_user_sgpr_flat_scratch_init 0
		.amdhsa_user_sgpr_private_segment_size 0
		.amdhsa_uses_dynamic_stack 0
		.amdhsa_system_sgpr_private_segment_wavefront_offset 1
		.amdhsa_system_sgpr_workgroup_id_x 1
		.amdhsa_system_sgpr_workgroup_id_y 0
		.amdhsa_system_sgpr_workgroup_id_z 0
		.amdhsa_system_sgpr_workgroup_info 0
		.amdhsa_system_vgpr_workitem_id 0
		.amdhsa_next_free_vgpr 128
		.amdhsa_next_free_sgpr 98
		.amdhsa_reserve_vcc 1
		.amdhsa_reserve_flat_scratch 0
		.amdhsa_float_round_mode_32 0
		.amdhsa_float_round_mode_16_64 0
		.amdhsa_float_denorm_mode_32 3
		.amdhsa_float_denorm_mode_16_64 3
		.amdhsa_dx10_clamp 1
		.amdhsa_ieee_mode 1
		.amdhsa_fp16_overflow 0
		.amdhsa_exception_fp_ieee_invalid_op 0
		.amdhsa_exception_fp_denorm_src 0
		.amdhsa_exception_fp_ieee_div_zero 0
		.amdhsa_exception_fp_ieee_overflow 0
		.amdhsa_exception_fp_ieee_underflow 0
		.amdhsa_exception_fp_ieee_inexact 0
		.amdhsa_exception_int_div_zero 0
	.end_amdhsa_kernel
	.section	.text._ZN2ck16tensor_operation6device12_GLOBAL__N_137kernel_grouped_conv_fwd_dl_multiple_dINS_32GridwiseGemmDlMultipleD_km_kn_mnILi256EDF16_fNS_5TupleIJDF16_EEEDF16_NS0_12element_wise11PassThroughES8_NS7_7AddReluELNS_25InMemoryDataOperationEnumE0ENS_16TensorDescriptorINS5_IJNS_5EmbedINS5_IJiiiiEEESD_Lb0EEENS_11PassThroughIiEENS_3PadIiiiLb0EEESI_SG_SG_NSC_INS5_IJiiEEESJ_Lb0EEESK_SG_NS_23Merge_v2_magic_divisionINS5_IJiiiEEEEESN_NS_8RightPadIiiLb0EEESP_NS_7UnMergeISJ_Lb0EEESG_EEENS5_IJNS_8SequenceIJLi0EEEENST_IJLi1EEEENST_IJLi2EEEENST_IJLi3EEEENST_IJLi4EEEENST_IJLi5EEEENST_IJLi6EEEENST_IJLi7EEEENST_IJLi8EEEENST_IJLi9ELi11ELi13EEEENST_IJLi10ELi12ELi14EEEENST_IJLi15EEEENST_IJLi16EEEENST_IJLi18EEEENST_IJLi17EEEEEEENS5_IJNST_IJLi1ELi2ELi3ELi4EEEESZ_S10_S11_S12_NST_IJLi9EEEENST_IJLi10ELi11EEEENST_IJLi12ELi13EEEENST_IJLi14EEEES15_S16_S18_S17_NST_IJLi19ELi20EEEENST_IJLi21EEEEEEENST_IJLi19ELi21ELi20EEEElEENSB_INS5_IJSR_SP_SP_SR_SG_EEENS5_IJSU_SV_SW_SY_SX_EEENS5_IJNST_IJLi1ELi2EEEESX_SY_NST_IJLi5ELi6EEEES11_EEENST_IJLi5ELi7ELi6EEEElEENSB_INS5_IJSK_SP_SP_EEENS5_IJSU_SV_SW_EEENS5_IJS1M_SX_SY_EEENST_IJLi3ELi4EEEElEELi128ELi128ELi16ELi2ELi4ELi4ELi1ENST_IJLi8ELi2EEEES1W_NST_IJLi8ELi1ELi1ELi2EEEENST_IJLi2ELi1ELi128ELi1EEEENST_IJLi1ELi2ELi0ELi3EEEES1Z_NST_IJLi4ELi1ELi1ELi2EEEES1Z_NST_IJLi1ELi1ELi1ELi2EEEES1X_S1Y_S1Z_S1Z_S20_S1Z_S21_NST_IJLi0ELi1ELi2ELi3ELi4ELi5EEEELi5ELi4EEEDF16_NS5_IJPKDF16_EEEDF16_S8_S8_S9_NSB_INS5_IJSE_SG_SI_SI_SG_SG_SK_SK_SG_SN_SN_SP_SP_SR_SG_SG_NSQ_INS5_IJiNS_17integral_constantIiLi128EEEEEELb0EEENSF_INS27_IiLi2EEEEEEEENS5_IJSU_SV_SW_SX_SY_SZ_S10_S11_S12_S13_S14_S15_S16_S17_S18_NST_IJLi19EEEES1G_NST_IJLi20EEEEEEENS5_IJS1A_SZ_S10_S11_S12_S1B_S1C_S1D_S1E_S15_S16_S18_S17_S1F_S1G_NST_IJLi22EEEENST_IJLi23ELi24EEEENST_IJLi25EEEEEEENST_IJLi22ELi23ELi24ELi25EEEElEENSB_INS5_IJSR_SP_SP_SR_SG_SG_S2A_S2C_EEENS5_IJSU_SV_SW_SY_SX_SZ_S11_S10_EEENS5_IJS1M_SX_SY_S1N_S11_S12_NST_IJLi9ELi10EEEENST_IJLi11EEEEEEENST_IJLi8ELi9ELi10ELi11EEEElEENS5_IJNSB_INS5_IJSK_SP_SP_NSQ_INS5_IJiS2B_NS27_IiLi64EEEEEELb0EEES2W_EEENS5_IJSU_SV_SW_SX_SY_EEENS5_IJS1M_SX_SY_NST_IJLi5ELi6ELi7EEEENST_IJLi8ELi9ELi10EEEEEEENST_IJLi5ELi6ELi7ELi8ELi9ELi10EEEElEEEEES33_NS_31BlockToCTileMap_M00_N00_M01_N01ILi128ELi128ES1V_Lb0EEENS1_30ComputePtrOffsetOfStridedBatchILi1ELi1ELi1EvEELb1ELb1EEEvPKT0_S3B_T1_PT2_T3_T4_T5_iT6_T7_T8_T9_T10_T11_,"axG",@progbits,_ZN2ck16tensor_operation6device12_GLOBAL__N_137kernel_grouped_conv_fwd_dl_multiple_dINS_32GridwiseGemmDlMultipleD_km_kn_mnILi256EDF16_fNS_5TupleIJDF16_EEEDF16_NS0_12element_wise11PassThroughES8_NS7_7AddReluELNS_25InMemoryDataOperationEnumE0ENS_16TensorDescriptorINS5_IJNS_5EmbedINS5_IJiiiiEEESD_Lb0EEENS_11PassThroughIiEENS_3PadIiiiLb0EEESI_SG_SG_NSC_INS5_IJiiEEESJ_Lb0EEESK_SG_NS_23Merge_v2_magic_divisionINS5_IJiiiEEEEESN_NS_8RightPadIiiLb0EEESP_NS_7UnMergeISJ_Lb0EEESG_EEENS5_IJNS_8SequenceIJLi0EEEENST_IJLi1EEEENST_IJLi2EEEENST_IJLi3EEEENST_IJLi4EEEENST_IJLi5EEEENST_IJLi6EEEENST_IJLi7EEEENST_IJLi8EEEENST_IJLi9ELi11ELi13EEEENST_IJLi10ELi12ELi14EEEENST_IJLi15EEEENST_IJLi16EEEENST_IJLi18EEEENST_IJLi17EEEEEEENS5_IJNST_IJLi1ELi2ELi3ELi4EEEESZ_S10_S11_S12_NST_IJLi9EEEENST_IJLi10ELi11EEEENST_IJLi12ELi13EEEENST_IJLi14EEEES15_S16_S18_S17_NST_IJLi19ELi20EEEENST_IJLi21EEEEEEENST_IJLi19ELi21ELi20EEEElEENSB_INS5_IJSR_SP_SP_SR_SG_EEENS5_IJSU_SV_SW_SY_SX_EEENS5_IJNST_IJLi1ELi2EEEESX_SY_NST_IJLi5ELi6EEEES11_EEENST_IJLi5ELi7ELi6EEEElEENSB_INS5_IJSK_SP_SP_EEENS5_IJSU_SV_SW_EEENS5_IJS1M_SX_SY_EEENST_IJLi3ELi4EEEElEELi128ELi128ELi16ELi2ELi4ELi4ELi1ENST_IJLi8ELi2EEEES1W_NST_IJLi8ELi1ELi1ELi2EEEENST_IJLi2ELi1ELi128ELi1EEEENST_IJLi1ELi2ELi0ELi3EEEES1Z_NST_IJLi4ELi1ELi1ELi2EEEES1Z_NST_IJLi1ELi1ELi1ELi2EEEES1X_S1Y_S1Z_S1Z_S20_S1Z_S21_NST_IJLi0ELi1ELi2ELi3ELi4ELi5EEEELi5ELi4EEEDF16_NS5_IJPKDF16_EEEDF16_S8_S8_S9_NSB_INS5_IJSE_SG_SI_SI_SG_SG_SK_SK_SG_SN_SN_SP_SP_SR_SG_SG_NSQ_INS5_IJiNS_17integral_constantIiLi128EEEEEELb0EEENSF_INS27_IiLi2EEEEEEEENS5_IJSU_SV_SW_SX_SY_SZ_S10_S11_S12_S13_S14_S15_S16_S17_S18_NST_IJLi19EEEES1G_NST_IJLi20EEEEEEENS5_IJS1A_SZ_S10_S11_S12_S1B_S1C_S1D_S1E_S15_S16_S18_S17_S1F_S1G_NST_IJLi22EEEENST_IJLi23ELi24EEEENST_IJLi25EEEEEEENST_IJLi22ELi23ELi24ELi25EEEElEENSB_INS5_IJSR_SP_SP_SR_SG_SG_S2A_S2C_EEENS5_IJSU_SV_SW_SY_SX_SZ_S11_S10_EEENS5_IJS1M_SX_SY_S1N_S11_S12_NST_IJLi9ELi10EEEENST_IJLi11EEEEEEENST_IJLi8ELi9ELi10ELi11EEEElEENS5_IJNSB_INS5_IJSK_SP_SP_NSQ_INS5_IJiS2B_NS27_IiLi64EEEEEELb0EEES2W_EEENS5_IJSU_SV_SW_SX_SY_EEENS5_IJS1M_SX_SY_NST_IJLi5ELi6ELi7EEEENST_IJLi8ELi9ELi10EEEEEEENST_IJLi5ELi6ELi7ELi8ELi9ELi10EEEElEEEEES33_NS_31BlockToCTileMap_M00_N00_M01_N01ILi128ELi128ES1V_Lb0EEENS1_30ComputePtrOffsetOfStridedBatchILi1ELi1ELi1EvEELb1ELb1EEEvPKT0_S3B_T1_PT2_T3_T4_T5_iT6_T7_T8_T9_T10_T11_,comdat
.Lfunc_end5:
	.size	_ZN2ck16tensor_operation6device12_GLOBAL__N_137kernel_grouped_conv_fwd_dl_multiple_dINS_32GridwiseGemmDlMultipleD_km_kn_mnILi256EDF16_fNS_5TupleIJDF16_EEEDF16_NS0_12element_wise11PassThroughES8_NS7_7AddReluELNS_25InMemoryDataOperationEnumE0ENS_16TensorDescriptorINS5_IJNS_5EmbedINS5_IJiiiiEEESD_Lb0EEENS_11PassThroughIiEENS_3PadIiiiLb0EEESI_SG_SG_NSC_INS5_IJiiEEESJ_Lb0EEESK_SG_NS_23Merge_v2_magic_divisionINS5_IJiiiEEEEESN_NS_8RightPadIiiLb0EEESP_NS_7UnMergeISJ_Lb0EEESG_EEENS5_IJNS_8SequenceIJLi0EEEENST_IJLi1EEEENST_IJLi2EEEENST_IJLi3EEEENST_IJLi4EEEENST_IJLi5EEEENST_IJLi6EEEENST_IJLi7EEEENST_IJLi8EEEENST_IJLi9ELi11ELi13EEEENST_IJLi10ELi12ELi14EEEENST_IJLi15EEEENST_IJLi16EEEENST_IJLi18EEEENST_IJLi17EEEEEEENS5_IJNST_IJLi1ELi2ELi3ELi4EEEESZ_S10_S11_S12_NST_IJLi9EEEENST_IJLi10ELi11EEEENST_IJLi12ELi13EEEENST_IJLi14EEEES15_S16_S18_S17_NST_IJLi19ELi20EEEENST_IJLi21EEEEEEENST_IJLi19ELi21ELi20EEEElEENSB_INS5_IJSR_SP_SP_SR_SG_EEENS5_IJSU_SV_SW_SY_SX_EEENS5_IJNST_IJLi1ELi2EEEESX_SY_NST_IJLi5ELi6EEEES11_EEENST_IJLi5ELi7ELi6EEEElEENSB_INS5_IJSK_SP_SP_EEENS5_IJSU_SV_SW_EEENS5_IJS1M_SX_SY_EEENST_IJLi3ELi4EEEElEELi128ELi128ELi16ELi2ELi4ELi4ELi1ENST_IJLi8ELi2EEEES1W_NST_IJLi8ELi1ELi1ELi2EEEENST_IJLi2ELi1ELi128ELi1EEEENST_IJLi1ELi2ELi0ELi3EEEES1Z_NST_IJLi4ELi1ELi1ELi2EEEES1Z_NST_IJLi1ELi1ELi1ELi2EEEES1X_S1Y_S1Z_S1Z_S20_S1Z_S21_NST_IJLi0ELi1ELi2ELi3ELi4ELi5EEEELi5ELi4EEEDF16_NS5_IJPKDF16_EEEDF16_S8_S8_S9_NSB_INS5_IJSE_SG_SI_SI_SG_SG_SK_SK_SG_SN_SN_SP_SP_SR_SG_SG_NSQ_INS5_IJiNS_17integral_constantIiLi128EEEEEELb0EEENSF_INS27_IiLi2EEEEEEEENS5_IJSU_SV_SW_SX_SY_SZ_S10_S11_S12_S13_S14_S15_S16_S17_S18_NST_IJLi19EEEES1G_NST_IJLi20EEEEEEENS5_IJS1A_SZ_S10_S11_S12_S1B_S1C_S1D_S1E_S15_S16_S18_S17_S1F_S1G_NST_IJLi22EEEENST_IJLi23ELi24EEEENST_IJLi25EEEEEEENST_IJLi22ELi23ELi24ELi25EEEElEENSB_INS5_IJSR_SP_SP_SR_SG_SG_S2A_S2C_EEENS5_IJSU_SV_SW_SY_SX_SZ_S11_S10_EEENS5_IJS1M_SX_SY_S1N_S11_S12_NST_IJLi9ELi10EEEENST_IJLi11EEEEEEENST_IJLi8ELi9ELi10ELi11EEEElEENS5_IJNSB_INS5_IJSK_SP_SP_NSQ_INS5_IJiS2B_NS27_IiLi64EEEEEELb0EEES2W_EEENS5_IJSU_SV_SW_SX_SY_EEENS5_IJS1M_SX_SY_NST_IJLi5ELi6ELi7EEEENST_IJLi8ELi9ELi10EEEEEEENST_IJLi5ELi6ELi7ELi8ELi9ELi10EEEElEEEEES33_NS_31BlockToCTileMap_M00_N00_M01_N01ILi128ELi128ES1V_Lb0EEENS1_30ComputePtrOffsetOfStridedBatchILi1ELi1ELi1EvEELb1ELb1EEEvPKT0_S3B_T1_PT2_T3_T4_T5_iT6_T7_T8_T9_T10_T11_, .Lfunc_end5-_ZN2ck16tensor_operation6device12_GLOBAL__N_137kernel_grouped_conv_fwd_dl_multiple_dINS_32GridwiseGemmDlMultipleD_km_kn_mnILi256EDF16_fNS_5TupleIJDF16_EEEDF16_NS0_12element_wise11PassThroughES8_NS7_7AddReluELNS_25InMemoryDataOperationEnumE0ENS_16TensorDescriptorINS5_IJNS_5EmbedINS5_IJiiiiEEESD_Lb0EEENS_11PassThroughIiEENS_3PadIiiiLb0EEESI_SG_SG_NSC_INS5_IJiiEEESJ_Lb0EEESK_SG_NS_23Merge_v2_magic_divisionINS5_IJiiiEEEEESN_NS_8RightPadIiiLb0EEESP_NS_7UnMergeISJ_Lb0EEESG_EEENS5_IJNS_8SequenceIJLi0EEEENST_IJLi1EEEENST_IJLi2EEEENST_IJLi3EEEENST_IJLi4EEEENST_IJLi5EEEENST_IJLi6EEEENST_IJLi7EEEENST_IJLi8EEEENST_IJLi9ELi11ELi13EEEENST_IJLi10ELi12ELi14EEEENST_IJLi15EEEENST_IJLi16EEEENST_IJLi18EEEENST_IJLi17EEEEEEENS5_IJNST_IJLi1ELi2ELi3ELi4EEEESZ_S10_S11_S12_NST_IJLi9EEEENST_IJLi10ELi11EEEENST_IJLi12ELi13EEEENST_IJLi14EEEES15_S16_S18_S17_NST_IJLi19ELi20EEEENST_IJLi21EEEEEEENST_IJLi19ELi21ELi20EEEElEENSB_INS5_IJSR_SP_SP_SR_SG_EEENS5_IJSU_SV_SW_SY_SX_EEENS5_IJNST_IJLi1ELi2EEEESX_SY_NST_IJLi5ELi6EEEES11_EEENST_IJLi5ELi7ELi6EEEElEENSB_INS5_IJSK_SP_SP_EEENS5_IJSU_SV_SW_EEENS5_IJS1M_SX_SY_EEENST_IJLi3ELi4EEEElEELi128ELi128ELi16ELi2ELi4ELi4ELi1ENST_IJLi8ELi2EEEES1W_NST_IJLi8ELi1ELi1ELi2EEEENST_IJLi2ELi1ELi128ELi1EEEENST_IJLi1ELi2ELi0ELi3EEEES1Z_NST_IJLi4ELi1ELi1ELi2EEEES1Z_NST_IJLi1ELi1ELi1ELi2EEEES1X_S1Y_S1Z_S1Z_S20_S1Z_S21_NST_IJLi0ELi1ELi2ELi3ELi4ELi5EEEELi5ELi4EEEDF16_NS5_IJPKDF16_EEEDF16_S8_S8_S9_NSB_INS5_IJSE_SG_SI_SI_SG_SG_SK_SK_SG_SN_SN_SP_SP_SR_SG_SG_NSQ_INS5_IJiNS_17integral_constantIiLi128EEEEEELb0EEENSF_INS27_IiLi2EEEEEEEENS5_IJSU_SV_SW_SX_SY_SZ_S10_S11_S12_S13_S14_S15_S16_S17_S18_NST_IJLi19EEEES1G_NST_IJLi20EEEEEEENS5_IJS1A_SZ_S10_S11_S12_S1B_S1C_S1D_S1E_S15_S16_S18_S17_S1F_S1G_NST_IJLi22EEEENST_IJLi23ELi24EEEENST_IJLi25EEEEEEENST_IJLi22ELi23ELi24ELi25EEEElEENSB_INS5_IJSR_SP_SP_SR_SG_SG_S2A_S2C_EEENS5_IJSU_SV_SW_SY_SX_SZ_S11_S10_EEENS5_IJS1M_SX_SY_S1N_S11_S12_NST_IJLi9ELi10EEEENST_IJLi11EEEEEEENST_IJLi8ELi9ELi10ELi11EEEElEENS5_IJNSB_INS5_IJSK_SP_SP_NSQ_INS5_IJiS2B_NS27_IiLi64EEEEEELb0EEES2W_EEENS5_IJSU_SV_SW_SX_SY_EEENS5_IJS1M_SX_SY_NST_IJLi5ELi6ELi7EEEENST_IJLi8ELi9ELi10EEEEEEENST_IJLi5ELi6ELi7ELi8ELi9ELi10EEEElEEEEES33_NS_31BlockToCTileMap_M00_N00_M01_N01ILi128ELi128ES1V_Lb0EEENS1_30ComputePtrOffsetOfStridedBatchILi1ELi1ELi1EvEELb1ELb1EEEvPKT0_S3B_T1_PT2_T3_T4_T5_iT6_T7_T8_T9_T10_T11_
                                        ; -- End function
	.set _ZN2ck16tensor_operation6device12_GLOBAL__N_137kernel_grouped_conv_fwd_dl_multiple_dINS_32GridwiseGemmDlMultipleD_km_kn_mnILi256EDF16_fNS_5TupleIJDF16_EEEDF16_NS0_12element_wise11PassThroughES8_NS7_7AddReluELNS_25InMemoryDataOperationEnumE0ENS_16TensorDescriptorINS5_IJNS_5EmbedINS5_IJiiiiEEESD_Lb0EEENS_11PassThroughIiEENS_3PadIiiiLb0EEESI_SG_SG_NSC_INS5_IJiiEEESJ_Lb0EEESK_SG_NS_23Merge_v2_magic_divisionINS5_IJiiiEEEEESN_NS_8RightPadIiiLb0EEESP_NS_7UnMergeISJ_Lb0EEESG_EEENS5_IJNS_8SequenceIJLi0EEEENST_IJLi1EEEENST_IJLi2EEEENST_IJLi3EEEENST_IJLi4EEEENST_IJLi5EEEENST_IJLi6EEEENST_IJLi7EEEENST_IJLi8EEEENST_IJLi9ELi11ELi13EEEENST_IJLi10ELi12ELi14EEEENST_IJLi15EEEENST_IJLi16EEEENST_IJLi18EEEENST_IJLi17EEEEEEENS5_IJNST_IJLi1ELi2ELi3ELi4EEEESZ_S10_S11_S12_NST_IJLi9EEEENST_IJLi10ELi11EEEENST_IJLi12ELi13EEEENST_IJLi14EEEES15_S16_S18_S17_NST_IJLi19ELi20EEEENST_IJLi21EEEEEEENST_IJLi19ELi21ELi20EEEElEENSB_INS5_IJSR_SP_SP_SR_SG_EEENS5_IJSU_SV_SW_SY_SX_EEENS5_IJNST_IJLi1ELi2EEEESX_SY_NST_IJLi5ELi6EEEES11_EEENST_IJLi5ELi7ELi6EEEElEENSB_INS5_IJSK_SP_SP_EEENS5_IJSU_SV_SW_EEENS5_IJS1M_SX_SY_EEENST_IJLi3ELi4EEEElEELi128ELi128ELi16ELi2ELi4ELi4ELi1ENST_IJLi8ELi2EEEES1W_NST_IJLi8ELi1ELi1ELi2EEEENST_IJLi2ELi1ELi128ELi1EEEENST_IJLi1ELi2ELi0ELi3EEEES1Z_NST_IJLi4ELi1ELi1ELi2EEEES1Z_NST_IJLi1ELi1ELi1ELi2EEEES1X_S1Y_S1Z_S1Z_S20_S1Z_S21_NST_IJLi0ELi1ELi2ELi3ELi4ELi5EEEELi5ELi4EEEDF16_NS5_IJPKDF16_EEEDF16_S8_S8_S9_NSB_INS5_IJSE_SG_SI_SI_SG_SG_SK_SK_SG_SN_SN_SP_SP_SR_SG_SG_NSQ_INS5_IJiNS_17integral_constantIiLi128EEEEEELb0EEENSF_INS27_IiLi2EEEEEEEENS5_IJSU_SV_SW_SX_SY_SZ_S10_S11_S12_S13_S14_S15_S16_S17_S18_NST_IJLi19EEEES1G_NST_IJLi20EEEEEEENS5_IJS1A_SZ_S10_S11_S12_S1B_S1C_S1D_S1E_S15_S16_S18_S17_S1F_S1G_NST_IJLi22EEEENST_IJLi23ELi24EEEENST_IJLi25EEEEEEENST_IJLi22ELi23ELi24ELi25EEEElEENSB_INS5_IJSR_SP_SP_SR_SG_SG_S2A_S2C_EEENS5_IJSU_SV_SW_SY_SX_SZ_S11_S10_EEENS5_IJS1M_SX_SY_S1N_S11_S12_NST_IJLi9ELi10EEEENST_IJLi11EEEEEEENST_IJLi8ELi9ELi10ELi11EEEElEENS5_IJNSB_INS5_IJSK_SP_SP_NSQ_INS5_IJiS2B_NS27_IiLi64EEEEEELb0EEES2W_EEENS5_IJSU_SV_SW_SX_SY_EEENS5_IJS1M_SX_SY_NST_IJLi5ELi6ELi7EEEENST_IJLi8ELi9ELi10EEEEEEENST_IJLi5ELi6ELi7ELi8ELi9ELi10EEEElEEEEES33_NS_31BlockToCTileMap_M00_N00_M01_N01ILi128ELi128ES1V_Lb0EEENS1_30ComputePtrOffsetOfStridedBatchILi1ELi1ELi1EvEELb1ELb1EEEvPKT0_S3B_T1_PT2_T3_T4_T5_iT6_T7_T8_T9_T10_T11_.num_vgpr, 128
	.set _ZN2ck16tensor_operation6device12_GLOBAL__N_137kernel_grouped_conv_fwd_dl_multiple_dINS_32GridwiseGemmDlMultipleD_km_kn_mnILi256EDF16_fNS_5TupleIJDF16_EEEDF16_NS0_12element_wise11PassThroughES8_NS7_7AddReluELNS_25InMemoryDataOperationEnumE0ENS_16TensorDescriptorINS5_IJNS_5EmbedINS5_IJiiiiEEESD_Lb0EEENS_11PassThroughIiEENS_3PadIiiiLb0EEESI_SG_SG_NSC_INS5_IJiiEEESJ_Lb0EEESK_SG_NS_23Merge_v2_magic_divisionINS5_IJiiiEEEEESN_NS_8RightPadIiiLb0EEESP_NS_7UnMergeISJ_Lb0EEESG_EEENS5_IJNS_8SequenceIJLi0EEEENST_IJLi1EEEENST_IJLi2EEEENST_IJLi3EEEENST_IJLi4EEEENST_IJLi5EEEENST_IJLi6EEEENST_IJLi7EEEENST_IJLi8EEEENST_IJLi9ELi11ELi13EEEENST_IJLi10ELi12ELi14EEEENST_IJLi15EEEENST_IJLi16EEEENST_IJLi18EEEENST_IJLi17EEEEEEENS5_IJNST_IJLi1ELi2ELi3ELi4EEEESZ_S10_S11_S12_NST_IJLi9EEEENST_IJLi10ELi11EEEENST_IJLi12ELi13EEEENST_IJLi14EEEES15_S16_S18_S17_NST_IJLi19ELi20EEEENST_IJLi21EEEEEEENST_IJLi19ELi21ELi20EEEElEENSB_INS5_IJSR_SP_SP_SR_SG_EEENS5_IJSU_SV_SW_SY_SX_EEENS5_IJNST_IJLi1ELi2EEEESX_SY_NST_IJLi5ELi6EEEES11_EEENST_IJLi5ELi7ELi6EEEElEENSB_INS5_IJSK_SP_SP_EEENS5_IJSU_SV_SW_EEENS5_IJS1M_SX_SY_EEENST_IJLi3ELi4EEEElEELi128ELi128ELi16ELi2ELi4ELi4ELi1ENST_IJLi8ELi2EEEES1W_NST_IJLi8ELi1ELi1ELi2EEEENST_IJLi2ELi1ELi128ELi1EEEENST_IJLi1ELi2ELi0ELi3EEEES1Z_NST_IJLi4ELi1ELi1ELi2EEEES1Z_NST_IJLi1ELi1ELi1ELi2EEEES1X_S1Y_S1Z_S1Z_S20_S1Z_S21_NST_IJLi0ELi1ELi2ELi3ELi4ELi5EEEELi5ELi4EEEDF16_NS5_IJPKDF16_EEEDF16_S8_S8_S9_NSB_INS5_IJSE_SG_SI_SI_SG_SG_SK_SK_SG_SN_SN_SP_SP_SR_SG_SG_NSQ_INS5_IJiNS_17integral_constantIiLi128EEEEEELb0EEENSF_INS27_IiLi2EEEEEEEENS5_IJSU_SV_SW_SX_SY_SZ_S10_S11_S12_S13_S14_S15_S16_S17_S18_NST_IJLi19EEEES1G_NST_IJLi20EEEEEEENS5_IJS1A_SZ_S10_S11_S12_S1B_S1C_S1D_S1E_S15_S16_S18_S17_S1F_S1G_NST_IJLi22EEEENST_IJLi23ELi24EEEENST_IJLi25EEEEEEENST_IJLi22ELi23ELi24ELi25EEEElEENSB_INS5_IJSR_SP_SP_SR_SG_SG_S2A_S2C_EEENS5_IJSU_SV_SW_SY_SX_SZ_S11_S10_EEENS5_IJS1M_SX_SY_S1N_S11_S12_NST_IJLi9ELi10EEEENST_IJLi11EEEEEEENST_IJLi8ELi9ELi10ELi11EEEElEENS5_IJNSB_INS5_IJSK_SP_SP_NSQ_INS5_IJiS2B_NS27_IiLi64EEEEEELb0EEES2W_EEENS5_IJSU_SV_SW_SX_SY_EEENS5_IJS1M_SX_SY_NST_IJLi5ELi6ELi7EEEENST_IJLi8ELi9ELi10EEEEEEENST_IJLi5ELi6ELi7ELi8ELi9ELi10EEEElEEEEES33_NS_31BlockToCTileMap_M00_N00_M01_N01ILi128ELi128ES1V_Lb0EEENS1_30ComputePtrOffsetOfStridedBatchILi1ELi1ELi1EvEELb1ELb1EEEvPKT0_S3B_T1_PT2_T3_T4_T5_iT6_T7_T8_T9_T10_T11_.num_agpr, 0
	.set _ZN2ck16tensor_operation6device12_GLOBAL__N_137kernel_grouped_conv_fwd_dl_multiple_dINS_32GridwiseGemmDlMultipleD_km_kn_mnILi256EDF16_fNS_5TupleIJDF16_EEEDF16_NS0_12element_wise11PassThroughES8_NS7_7AddReluELNS_25InMemoryDataOperationEnumE0ENS_16TensorDescriptorINS5_IJNS_5EmbedINS5_IJiiiiEEESD_Lb0EEENS_11PassThroughIiEENS_3PadIiiiLb0EEESI_SG_SG_NSC_INS5_IJiiEEESJ_Lb0EEESK_SG_NS_23Merge_v2_magic_divisionINS5_IJiiiEEEEESN_NS_8RightPadIiiLb0EEESP_NS_7UnMergeISJ_Lb0EEESG_EEENS5_IJNS_8SequenceIJLi0EEEENST_IJLi1EEEENST_IJLi2EEEENST_IJLi3EEEENST_IJLi4EEEENST_IJLi5EEEENST_IJLi6EEEENST_IJLi7EEEENST_IJLi8EEEENST_IJLi9ELi11ELi13EEEENST_IJLi10ELi12ELi14EEEENST_IJLi15EEEENST_IJLi16EEEENST_IJLi18EEEENST_IJLi17EEEEEEENS5_IJNST_IJLi1ELi2ELi3ELi4EEEESZ_S10_S11_S12_NST_IJLi9EEEENST_IJLi10ELi11EEEENST_IJLi12ELi13EEEENST_IJLi14EEEES15_S16_S18_S17_NST_IJLi19ELi20EEEENST_IJLi21EEEEEEENST_IJLi19ELi21ELi20EEEElEENSB_INS5_IJSR_SP_SP_SR_SG_EEENS5_IJSU_SV_SW_SY_SX_EEENS5_IJNST_IJLi1ELi2EEEESX_SY_NST_IJLi5ELi6EEEES11_EEENST_IJLi5ELi7ELi6EEEElEENSB_INS5_IJSK_SP_SP_EEENS5_IJSU_SV_SW_EEENS5_IJS1M_SX_SY_EEENST_IJLi3ELi4EEEElEELi128ELi128ELi16ELi2ELi4ELi4ELi1ENST_IJLi8ELi2EEEES1W_NST_IJLi8ELi1ELi1ELi2EEEENST_IJLi2ELi1ELi128ELi1EEEENST_IJLi1ELi2ELi0ELi3EEEES1Z_NST_IJLi4ELi1ELi1ELi2EEEES1Z_NST_IJLi1ELi1ELi1ELi2EEEES1X_S1Y_S1Z_S1Z_S20_S1Z_S21_NST_IJLi0ELi1ELi2ELi3ELi4ELi5EEEELi5ELi4EEEDF16_NS5_IJPKDF16_EEEDF16_S8_S8_S9_NSB_INS5_IJSE_SG_SI_SI_SG_SG_SK_SK_SG_SN_SN_SP_SP_SR_SG_SG_NSQ_INS5_IJiNS_17integral_constantIiLi128EEEEEELb0EEENSF_INS27_IiLi2EEEEEEEENS5_IJSU_SV_SW_SX_SY_SZ_S10_S11_S12_S13_S14_S15_S16_S17_S18_NST_IJLi19EEEES1G_NST_IJLi20EEEEEEENS5_IJS1A_SZ_S10_S11_S12_S1B_S1C_S1D_S1E_S15_S16_S18_S17_S1F_S1G_NST_IJLi22EEEENST_IJLi23ELi24EEEENST_IJLi25EEEEEEENST_IJLi22ELi23ELi24ELi25EEEElEENSB_INS5_IJSR_SP_SP_SR_SG_SG_S2A_S2C_EEENS5_IJSU_SV_SW_SY_SX_SZ_S11_S10_EEENS5_IJS1M_SX_SY_S1N_S11_S12_NST_IJLi9ELi10EEEENST_IJLi11EEEEEEENST_IJLi8ELi9ELi10ELi11EEEElEENS5_IJNSB_INS5_IJSK_SP_SP_NSQ_INS5_IJiS2B_NS27_IiLi64EEEEEELb0EEES2W_EEENS5_IJSU_SV_SW_SX_SY_EEENS5_IJS1M_SX_SY_NST_IJLi5ELi6ELi7EEEENST_IJLi8ELi9ELi10EEEEEEENST_IJLi5ELi6ELi7ELi8ELi9ELi10EEEElEEEEES33_NS_31BlockToCTileMap_M00_N00_M01_N01ILi128ELi128ES1V_Lb0EEENS1_30ComputePtrOffsetOfStridedBatchILi1ELi1ELi1EvEELb1ELb1EEEvPKT0_S3B_T1_PT2_T3_T4_T5_iT6_T7_T8_T9_T10_T11_.numbered_sgpr, 80
	.set _ZN2ck16tensor_operation6device12_GLOBAL__N_137kernel_grouped_conv_fwd_dl_multiple_dINS_32GridwiseGemmDlMultipleD_km_kn_mnILi256EDF16_fNS_5TupleIJDF16_EEEDF16_NS0_12element_wise11PassThroughES8_NS7_7AddReluELNS_25InMemoryDataOperationEnumE0ENS_16TensorDescriptorINS5_IJNS_5EmbedINS5_IJiiiiEEESD_Lb0EEENS_11PassThroughIiEENS_3PadIiiiLb0EEESI_SG_SG_NSC_INS5_IJiiEEESJ_Lb0EEESK_SG_NS_23Merge_v2_magic_divisionINS5_IJiiiEEEEESN_NS_8RightPadIiiLb0EEESP_NS_7UnMergeISJ_Lb0EEESG_EEENS5_IJNS_8SequenceIJLi0EEEENST_IJLi1EEEENST_IJLi2EEEENST_IJLi3EEEENST_IJLi4EEEENST_IJLi5EEEENST_IJLi6EEEENST_IJLi7EEEENST_IJLi8EEEENST_IJLi9ELi11ELi13EEEENST_IJLi10ELi12ELi14EEEENST_IJLi15EEEENST_IJLi16EEEENST_IJLi18EEEENST_IJLi17EEEEEEENS5_IJNST_IJLi1ELi2ELi3ELi4EEEESZ_S10_S11_S12_NST_IJLi9EEEENST_IJLi10ELi11EEEENST_IJLi12ELi13EEEENST_IJLi14EEEES15_S16_S18_S17_NST_IJLi19ELi20EEEENST_IJLi21EEEEEEENST_IJLi19ELi21ELi20EEEElEENSB_INS5_IJSR_SP_SP_SR_SG_EEENS5_IJSU_SV_SW_SY_SX_EEENS5_IJNST_IJLi1ELi2EEEESX_SY_NST_IJLi5ELi6EEEES11_EEENST_IJLi5ELi7ELi6EEEElEENSB_INS5_IJSK_SP_SP_EEENS5_IJSU_SV_SW_EEENS5_IJS1M_SX_SY_EEENST_IJLi3ELi4EEEElEELi128ELi128ELi16ELi2ELi4ELi4ELi1ENST_IJLi8ELi2EEEES1W_NST_IJLi8ELi1ELi1ELi2EEEENST_IJLi2ELi1ELi128ELi1EEEENST_IJLi1ELi2ELi0ELi3EEEES1Z_NST_IJLi4ELi1ELi1ELi2EEEES1Z_NST_IJLi1ELi1ELi1ELi2EEEES1X_S1Y_S1Z_S1Z_S20_S1Z_S21_NST_IJLi0ELi1ELi2ELi3ELi4ELi5EEEELi5ELi4EEEDF16_NS5_IJPKDF16_EEEDF16_S8_S8_S9_NSB_INS5_IJSE_SG_SI_SI_SG_SG_SK_SK_SG_SN_SN_SP_SP_SR_SG_SG_NSQ_INS5_IJiNS_17integral_constantIiLi128EEEEEELb0EEENSF_INS27_IiLi2EEEEEEEENS5_IJSU_SV_SW_SX_SY_SZ_S10_S11_S12_S13_S14_S15_S16_S17_S18_NST_IJLi19EEEES1G_NST_IJLi20EEEEEEENS5_IJS1A_SZ_S10_S11_S12_S1B_S1C_S1D_S1E_S15_S16_S18_S17_S1F_S1G_NST_IJLi22EEEENST_IJLi23ELi24EEEENST_IJLi25EEEEEEENST_IJLi22ELi23ELi24ELi25EEEElEENSB_INS5_IJSR_SP_SP_SR_SG_SG_S2A_S2C_EEENS5_IJSU_SV_SW_SY_SX_SZ_S11_S10_EEENS5_IJS1M_SX_SY_S1N_S11_S12_NST_IJLi9ELi10EEEENST_IJLi11EEEEEEENST_IJLi8ELi9ELi10ELi11EEEElEENS5_IJNSB_INS5_IJSK_SP_SP_NSQ_INS5_IJiS2B_NS27_IiLi64EEEEEELb0EEES2W_EEENS5_IJSU_SV_SW_SX_SY_EEENS5_IJS1M_SX_SY_NST_IJLi5ELi6ELi7EEEENST_IJLi8ELi9ELi10EEEEEEENST_IJLi5ELi6ELi7ELi8ELi9ELi10EEEElEEEEES33_NS_31BlockToCTileMap_M00_N00_M01_N01ILi128ELi128ES1V_Lb0EEENS1_30ComputePtrOffsetOfStridedBatchILi1ELi1ELi1EvEELb1ELb1EEEvPKT0_S3B_T1_PT2_T3_T4_T5_iT6_T7_T8_T9_T10_T11_.num_named_barrier, 0
	.set _ZN2ck16tensor_operation6device12_GLOBAL__N_137kernel_grouped_conv_fwd_dl_multiple_dINS_32GridwiseGemmDlMultipleD_km_kn_mnILi256EDF16_fNS_5TupleIJDF16_EEEDF16_NS0_12element_wise11PassThroughES8_NS7_7AddReluELNS_25InMemoryDataOperationEnumE0ENS_16TensorDescriptorINS5_IJNS_5EmbedINS5_IJiiiiEEESD_Lb0EEENS_11PassThroughIiEENS_3PadIiiiLb0EEESI_SG_SG_NSC_INS5_IJiiEEESJ_Lb0EEESK_SG_NS_23Merge_v2_magic_divisionINS5_IJiiiEEEEESN_NS_8RightPadIiiLb0EEESP_NS_7UnMergeISJ_Lb0EEESG_EEENS5_IJNS_8SequenceIJLi0EEEENST_IJLi1EEEENST_IJLi2EEEENST_IJLi3EEEENST_IJLi4EEEENST_IJLi5EEEENST_IJLi6EEEENST_IJLi7EEEENST_IJLi8EEEENST_IJLi9ELi11ELi13EEEENST_IJLi10ELi12ELi14EEEENST_IJLi15EEEENST_IJLi16EEEENST_IJLi18EEEENST_IJLi17EEEEEEENS5_IJNST_IJLi1ELi2ELi3ELi4EEEESZ_S10_S11_S12_NST_IJLi9EEEENST_IJLi10ELi11EEEENST_IJLi12ELi13EEEENST_IJLi14EEEES15_S16_S18_S17_NST_IJLi19ELi20EEEENST_IJLi21EEEEEEENST_IJLi19ELi21ELi20EEEElEENSB_INS5_IJSR_SP_SP_SR_SG_EEENS5_IJSU_SV_SW_SY_SX_EEENS5_IJNST_IJLi1ELi2EEEESX_SY_NST_IJLi5ELi6EEEES11_EEENST_IJLi5ELi7ELi6EEEElEENSB_INS5_IJSK_SP_SP_EEENS5_IJSU_SV_SW_EEENS5_IJS1M_SX_SY_EEENST_IJLi3ELi4EEEElEELi128ELi128ELi16ELi2ELi4ELi4ELi1ENST_IJLi8ELi2EEEES1W_NST_IJLi8ELi1ELi1ELi2EEEENST_IJLi2ELi1ELi128ELi1EEEENST_IJLi1ELi2ELi0ELi3EEEES1Z_NST_IJLi4ELi1ELi1ELi2EEEES1Z_NST_IJLi1ELi1ELi1ELi2EEEES1X_S1Y_S1Z_S1Z_S20_S1Z_S21_NST_IJLi0ELi1ELi2ELi3ELi4ELi5EEEELi5ELi4EEEDF16_NS5_IJPKDF16_EEEDF16_S8_S8_S9_NSB_INS5_IJSE_SG_SI_SI_SG_SG_SK_SK_SG_SN_SN_SP_SP_SR_SG_SG_NSQ_INS5_IJiNS_17integral_constantIiLi128EEEEEELb0EEENSF_INS27_IiLi2EEEEEEEENS5_IJSU_SV_SW_SX_SY_SZ_S10_S11_S12_S13_S14_S15_S16_S17_S18_NST_IJLi19EEEES1G_NST_IJLi20EEEEEEENS5_IJS1A_SZ_S10_S11_S12_S1B_S1C_S1D_S1E_S15_S16_S18_S17_S1F_S1G_NST_IJLi22EEEENST_IJLi23ELi24EEEENST_IJLi25EEEEEEENST_IJLi22ELi23ELi24ELi25EEEElEENSB_INS5_IJSR_SP_SP_SR_SG_SG_S2A_S2C_EEENS5_IJSU_SV_SW_SY_SX_SZ_S11_S10_EEENS5_IJS1M_SX_SY_S1N_S11_S12_NST_IJLi9ELi10EEEENST_IJLi11EEEEEEENST_IJLi8ELi9ELi10ELi11EEEElEENS5_IJNSB_INS5_IJSK_SP_SP_NSQ_INS5_IJiS2B_NS27_IiLi64EEEEEELb0EEES2W_EEENS5_IJSU_SV_SW_SX_SY_EEENS5_IJS1M_SX_SY_NST_IJLi5ELi6ELi7EEEENST_IJLi8ELi9ELi10EEEEEEENST_IJLi5ELi6ELi7ELi8ELi9ELi10EEEElEEEEES33_NS_31BlockToCTileMap_M00_N00_M01_N01ILi128ELi128ES1V_Lb0EEENS1_30ComputePtrOffsetOfStridedBatchILi1ELi1ELi1EvEELb1ELb1EEEvPKT0_S3B_T1_PT2_T3_T4_T5_iT6_T7_T8_T9_T10_T11_.private_seg_size, 164
	.set _ZN2ck16tensor_operation6device12_GLOBAL__N_137kernel_grouped_conv_fwd_dl_multiple_dINS_32GridwiseGemmDlMultipleD_km_kn_mnILi256EDF16_fNS_5TupleIJDF16_EEEDF16_NS0_12element_wise11PassThroughES8_NS7_7AddReluELNS_25InMemoryDataOperationEnumE0ENS_16TensorDescriptorINS5_IJNS_5EmbedINS5_IJiiiiEEESD_Lb0EEENS_11PassThroughIiEENS_3PadIiiiLb0EEESI_SG_SG_NSC_INS5_IJiiEEESJ_Lb0EEESK_SG_NS_23Merge_v2_magic_divisionINS5_IJiiiEEEEESN_NS_8RightPadIiiLb0EEESP_NS_7UnMergeISJ_Lb0EEESG_EEENS5_IJNS_8SequenceIJLi0EEEENST_IJLi1EEEENST_IJLi2EEEENST_IJLi3EEEENST_IJLi4EEEENST_IJLi5EEEENST_IJLi6EEEENST_IJLi7EEEENST_IJLi8EEEENST_IJLi9ELi11ELi13EEEENST_IJLi10ELi12ELi14EEEENST_IJLi15EEEENST_IJLi16EEEENST_IJLi18EEEENST_IJLi17EEEEEEENS5_IJNST_IJLi1ELi2ELi3ELi4EEEESZ_S10_S11_S12_NST_IJLi9EEEENST_IJLi10ELi11EEEENST_IJLi12ELi13EEEENST_IJLi14EEEES15_S16_S18_S17_NST_IJLi19ELi20EEEENST_IJLi21EEEEEEENST_IJLi19ELi21ELi20EEEElEENSB_INS5_IJSR_SP_SP_SR_SG_EEENS5_IJSU_SV_SW_SY_SX_EEENS5_IJNST_IJLi1ELi2EEEESX_SY_NST_IJLi5ELi6EEEES11_EEENST_IJLi5ELi7ELi6EEEElEENSB_INS5_IJSK_SP_SP_EEENS5_IJSU_SV_SW_EEENS5_IJS1M_SX_SY_EEENST_IJLi3ELi4EEEElEELi128ELi128ELi16ELi2ELi4ELi4ELi1ENST_IJLi8ELi2EEEES1W_NST_IJLi8ELi1ELi1ELi2EEEENST_IJLi2ELi1ELi128ELi1EEEENST_IJLi1ELi2ELi0ELi3EEEES1Z_NST_IJLi4ELi1ELi1ELi2EEEES1Z_NST_IJLi1ELi1ELi1ELi2EEEES1X_S1Y_S1Z_S1Z_S20_S1Z_S21_NST_IJLi0ELi1ELi2ELi3ELi4ELi5EEEELi5ELi4EEEDF16_NS5_IJPKDF16_EEEDF16_S8_S8_S9_NSB_INS5_IJSE_SG_SI_SI_SG_SG_SK_SK_SG_SN_SN_SP_SP_SR_SG_SG_NSQ_INS5_IJiNS_17integral_constantIiLi128EEEEEELb0EEENSF_INS27_IiLi2EEEEEEEENS5_IJSU_SV_SW_SX_SY_SZ_S10_S11_S12_S13_S14_S15_S16_S17_S18_NST_IJLi19EEEES1G_NST_IJLi20EEEEEEENS5_IJS1A_SZ_S10_S11_S12_S1B_S1C_S1D_S1E_S15_S16_S18_S17_S1F_S1G_NST_IJLi22EEEENST_IJLi23ELi24EEEENST_IJLi25EEEEEEENST_IJLi22ELi23ELi24ELi25EEEElEENSB_INS5_IJSR_SP_SP_SR_SG_SG_S2A_S2C_EEENS5_IJSU_SV_SW_SY_SX_SZ_S11_S10_EEENS5_IJS1M_SX_SY_S1N_S11_S12_NST_IJLi9ELi10EEEENST_IJLi11EEEEEEENST_IJLi8ELi9ELi10ELi11EEEElEENS5_IJNSB_INS5_IJSK_SP_SP_NSQ_INS5_IJiS2B_NS27_IiLi64EEEEEELb0EEES2W_EEENS5_IJSU_SV_SW_SX_SY_EEENS5_IJS1M_SX_SY_NST_IJLi5ELi6ELi7EEEENST_IJLi8ELi9ELi10EEEEEEENST_IJLi5ELi6ELi7ELi8ELi9ELi10EEEElEEEEES33_NS_31BlockToCTileMap_M00_N00_M01_N01ILi128ELi128ES1V_Lb0EEENS1_30ComputePtrOffsetOfStridedBatchILi1ELi1ELi1EvEELb1ELb1EEEvPKT0_S3B_T1_PT2_T3_T4_T5_iT6_T7_T8_T9_T10_T11_.uses_vcc, 1
	.set _ZN2ck16tensor_operation6device12_GLOBAL__N_137kernel_grouped_conv_fwd_dl_multiple_dINS_32GridwiseGemmDlMultipleD_km_kn_mnILi256EDF16_fNS_5TupleIJDF16_EEEDF16_NS0_12element_wise11PassThroughES8_NS7_7AddReluELNS_25InMemoryDataOperationEnumE0ENS_16TensorDescriptorINS5_IJNS_5EmbedINS5_IJiiiiEEESD_Lb0EEENS_11PassThroughIiEENS_3PadIiiiLb0EEESI_SG_SG_NSC_INS5_IJiiEEESJ_Lb0EEESK_SG_NS_23Merge_v2_magic_divisionINS5_IJiiiEEEEESN_NS_8RightPadIiiLb0EEESP_NS_7UnMergeISJ_Lb0EEESG_EEENS5_IJNS_8SequenceIJLi0EEEENST_IJLi1EEEENST_IJLi2EEEENST_IJLi3EEEENST_IJLi4EEEENST_IJLi5EEEENST_IJLi6EEEENST_IJLi7EEEENST_IJLi8EEEENST_IJLi9ELi11ELi13EEEENST_IJLi10ELi12ELi14EEEENST_IJLi15EEEENST_IJLi16EEEENST_IJLi18EEEENST_IJLi17EEEEEEENS5_IJNST_IJLi1ELi2ELi3ELi4EEEESZ_S10_S11_S12_NST_IJLi9EEEENST_IJLi10ELi11EEEENST_IJLi12ELi13EEEENST_IJLi14EEEES15_S16_S18_S17_NST_IJLi19ELi20EEEENST_IJLi21EEEEEEENST_IJLi19ELi21ELi20EEEElEENSB_INS5_IJSR_SP_SP_SR_SG_EEENS5_IJSU_SV_SW_SY_SX_EEENS5_IJNST_IJLi1ELi2EEEESX_SY_NST_IJLi5ELi6EEEES11_EEENST_IJLi5ELi7ELi6EEEElEENSB_INS5_IJSK_SP_SP_EEENS5_IJSU_SV_SW_EEENS5_IJS1M_SX_SY_EEENST_IJLi3ELi4EEEElEELi128ELi128ELi16ELi2ELi4ELi4ELi1ENST_IJLi8ELi2EEEES1W_NST_IJLi8ELi1ELi1ELi2EEEENST_IJLi2ELi1ELi128ELi1EEEENST_IJLi1ELi2ELi0ELi3EEEES1Z_NST_IJLi4ELi1ELi1ELi2EEEES1Z_NST_IJLi1ELi1ELi1ELi2EEEES1X_S1Y_S1Z_S1Z_S20_S1Z_S21_NST_IJLi0ELi1ELi2ELi3ELi4ELi5EEEELi5ELi4EEEDF16_NS5_IJPKDF16_EEEDF16_S8_S8_S9_NSB_INS5_IJSE_SG_SI_SI_SG_SG_SK_SK_SG_SN_SN_SP_SP_SR_SG_SG_NSQ_INS5_IJiNS_17integral_constantIiLi128EEEEEELb0EEENSF_INS27_IiLi2EEEEEEEENS5_IJSU_SV_SW_SX_SY_SZ_S10_S11_S12_S13_S14_S15_S16_S17_S18_NST_IJLi19EEEES1G_NST_IJLi20EEEEEEENS5_IJS1A_SZ_S10_S11_S12_S1B_S1C_S1D_S1E_S15_S16_S18_S17_S1F_S1G_NST_IJLi22EEEENST_IJLi23ELi24EEEENST_IJLi25EEEEEEENST_IJLi22ELi23ELi24ELi25EEEElEENSB_INS5_IJSR_SP_SP_SR_SG_SG_S2A_S2C_EEENS5_IJSU_SV_SW_SY_SX_SZ_S11_S10_EEENS5_IJS1M_SX_SY_S1N_S11_S12_NST_IJLi9ELi10EEEENST_IJLi11EEEEEEENST_IJLi8ELi9ELi10ELi11EEEElEENS5_IJNSB_INS5_IJSK_SP_SP_NSQ_INS5_IJiS2B_NS27_IiLi64EEEEEELb0EEES2W_EEENS5_IJSU_SV_SW_SX_SY_EEENS5_IJS1M_SX_SY_NST_IJLi5ELi6ELi7EEEENST_IJLi8ELi9ELi10EEEEEEENST_IJLi5ELi6ELi7ELi8ELi9ELi10EEEElEEEEES33_NS_31BlockToCTileMap_M00_N00_M01_N01ILi128ELi128ES1V_Lb0EEENS1_30ComputePtrOffsetOfStridedBatchILi1ELi1ELi1EvEELb1ELb1EEEvPKT0_S3B_T1_PT2_T3_T4_T5_iT6_T7_T8_T9_T10_T11_.uses_flat_scratch, 0
	.set _ZN2ck16tensor_operation6device12_GLOBAL__N_137kernel_grouped_conv_fwd_dl_multiple_dINS_32GridwiseGemmDlMultipleD_km_kn_mnILi256EDF16_fNS_5TupleIJDF16_EEEDF16_NS0_12element_wise11PassThroughES8_NS7_7AddReluELNS_25InMemoryDataOperationEnumE0ENS_16TensorDescriptorINS5_IJNS_5EmbedINS5_IJiiiiEEESD_Lb0EEENS_11PassThroughIiEENS_3PadIiiiLb0EEESI_SG_SG_NSC_INS5_IJiiEEESJ_Lb0EEESK_SG_NS_23Merge_v2_magic_divisionINS5_IJiiiEEEEESN_NS_8RightPadIiiLb0EEESP_NS_7UnMergeISJ_Lb0EEESG_EEENS5_IJNS_8SequenceIJLi0EEEENST_IJLi1EEEENST_IJLi2EEEENST_IJLi3EEEENST_IJLi4EEEENST_IJLi5EEEENST_IJLi6EEEENST_IJLi7EEEENST_IJLi8EEEENST_IJLi9ELi11ELi13EEEENST_IJLi10ELi12ELi14EEEENST_IJLi15EEEENST_IJLi16EEEENST_IJLi18EEEENST_IJLi17EEEEEEENS5_IJNST_IJLi1ELi2ELi3ELi4EEEESZ_S10_S11_S12_NST_IJLi9EEEENST_IJLi10ELi11EEEENST_IJLi12ELi13EEEENST_IJLi14EEEES15_S16_S18_S17_NST_IJLi19ELi20EEEENST_IJLi21EEEEEEENST_IJLi19ELi21ELi20EEEElEENSB_INS5_IJSR_SP_SP_SR_SG_EEENS5_IJSU_SV_SW_SY_SX_EEENS5_IJNST_IJLi1ELi2EEEESX_SY_NST_IJLi5ELi6EEEES11_EEENST_IJLi5ELi7ELi6EEEElEENSB_INS5_IJSK_SP_SP_EEENS5_IJSU_SV_SW_EEENS5_IJS1M_SX_SY_EEENST_IJLi3ELi4EEEElEELi128ELi128ELi16ELi2ELi4ELi4ELi1ENST_IJLi8ELi2EEEES1W_NST_IJLi8ELi1ELi1ELi2EEEENST_IJLi2ELi1ELi128ELi1EEEENST_IJLi1ELi2ELi0ELi3EEEES1Z_NST_IJLi4ELi1ELi1ELi2EEEES1Z_NST_IJLi1ELi1ELi1ELi2EEEES1X_S1Y_S1Z_S1Z_S20_S1Z_S21_NST_IJLi0ELi1ELi2ELi3ELi4ELi5EEEELi5ELi4EEEDF16_NS5_IJPKDF16_EEEDF16_S8_S8_S9_NSB_INS5_IJSE_SG_SI_SI_SG_SG_SK_SK_SG_SN_SN_SP_SP_SR_SG_SG_NSQ_INS5_IJiNS_17integral_constantIiLi128EEEEEELb0EEENSF_INS27_IiLi2EEEEEEEENS5_IJSU_SV_SW_SX_SY_SZ_S10_S11_S12_S13_S14_S15_S16_S17_S18_NST_IJLi19EEEES1G_NST_IJLi20EEEEEEENS5_IJS1A_SZ_S10_S11_S12_S1B_S1C_S1D_S1E_S15_S16_S18_S17_S1F_S1G_NST_IJLi22EEEENST_IJLi23ELi24EEEENST_IJLi25EEEEEEENST_IJLi22ELi23ELi24ELi25EEEElEENSB_INS5_IJSR_SP_SP_SR_SG_SG_S2A_S2C_EEENS5_IJSU_SV_SW_SY_SX_SZ_S11_S10_EEENS5_IJS1M_SX_SY_S1N_S11_S12_NST_IJLi9ELi10EEEENST_IJLi11EEEEEEENST_IJLi8ELi9ELi10ELi11EEEElEENS5_IJNSB_INS5_IJSK_SP_SP_NSQ_INS5_IJiS2B_NS27_IiLi64EEEEEELb0EEES2W_EEENS5_IJSU_SV_SW_SX_SY_EEENS5_IJS1M_SX_SY_NST_IJLi5ELi6ELi7EEEENST_IJLi8ELi9ELi10EEEEEEENST_IJLi5ELi6ELi7ELi8ELi9ELi10EEEElEEEEES33_NS_31BlockToCTileMap_M00_N00_M01_N01ILi128ELi128ES1V_Lb0EEENS1_30ComputePtrOffsetOfStridedBatchILi1ELi1ELi1EvEELb1ELb1EEEvPKT0_S3B_T1_PT2_T3_T4_T5_iT6_T7_T8_T9_T10_T11_.has_dyn_sized_stack, 0
	.set _ZN2ck16tensor_operation6device12_GLOBAL__N_137kernel_grouped_conv_fwd_dl_multiple_dINS_32GridwiseGemmDlMultipleD_km_kn_mnILi256EDF16_fNS_5TupleIJDF16_EEEDF16_NS0_12element_wise11PassThroughES8_NS7_7AddReluELNS_25InMemoryDataOperationEnumE0ENS_16TensorDescriptorINS5_IJNS_5EmbedINS5_IJiiiiEEESD_Lb0EEENS_11PassThroughIiEENS_3PadIiiiLb0EEESI_SG_SG_NSC_INS5_IJiiEEESJ_Lb0EEESK_SG_NS_23Merge_v2_magic_divisionINS5_IJiiiEEEEESN_NS_8RightPadIiiLb0EEESP_NS_7UnMergeISJ_Lb0EEESG_EEENS5_IJNS_8SequenceIJLi0EEEENST_IJLi1EEEENST_IJLi2EEEENST_IJLi3EEEENST_IJLi4EEEENST_IJLi5EEEENST_IJLi6EEEENST_IJLi7EEEENST_IJLi8EEEENST_IJLi9ELi11ELi13EEEENST_IJLi10ELi12ELi14EEEENST_IJLi15EEEENST_IJLi16EEEENST_IJLi18EEEENST_IJLi17EEEEEEENS5_IJNST_IJLi1ELi2ELi3ELi4EEEESZ_S10_S11_S12_NST_IJLi9EEEENST_IJLi10ELi11EEEENST_IJLi12ELi13EEEENST_IJLi14EEEES15_S16_S18_S17_NST_IJLi19ELi20EEEENST_IJLi21EEEEEEENST_IJLi19ELi21ELi20EEEElEENSB_INS5_IJSR_SP_SP_SR_SG_EEENS5_IJSU_SV_SW_SY_SX_EEENS5_IJNST_IJLi1ELi2EEEESX_SY_NST_IJLi5ELi6EEEES11_EEENST_IJLi5ELi7ELi6EEEElEENSB_INS5_IJSK_SP_SP_EEENS5_IJSU_SV_SW_EEENS5_IJS1M_SX_SY_EEENST_IJLi3ELi4EEEElEELi128ELi128ELi16ELi2ELi4ELi4ELi1ENST_IJLi8ELi2EEEES1W_NST_IJLi8ELi1ELi1ELi2EEEENST_IJLi2ELi1ELi128ELi1EEEENST_IJLi1ELi2ELi0ELi3EEEES1Z_NST_IJLi4ELi1ELi1ELi2EEEES1Z_NST_IJLi1ELi1ELi1ELi2EEEES1X_S1Y_S1Z_S1Z_S20_S1Z_S21_NST_IJLi0ELi1ELi2ELi3ELi4ELi5EEEELi5ELi4EEEDF16_NS5_IJPKDF16_EEEDF16_S8_S8_S9_NSB_INS5_IJSE_SG_SI_SI_SG_SG_SK_SK_SG_SN_SN_SP_SP_SR_SG_SG_NSQ_INS5_IJiNS_17integral_constantIiLi128EEEEEELb0EEENSF_INS27_IiLi2EEEEEEEENS5_IJSU_SV_SW_SX_SY_SZ_S10_S11_S12_S13_S14_S15_S16_S17_S18_NST_IJLi19EEEES1G_NST_IJLi20EEEEEEENS5_IJS1A_SZ_S10_S11_S12_S1B_S1C_S1D_S1E_S15_S16_S18_S17_S1F_S1G_NST_IJLi22EEEENST_IJLi23ELi24EEEENST_IJLi25EEEEEEENST_IJLi22ELi23ELi24ELi25EEEElEENSB_INS5_IJSR_SP_SP_SR_SG_SG_S2A_S2C_EEENS5_IJSU_SV_SW_SY_SX_SZ_S11_S10_EEENS5_IJS1M_SX_SY_S1N_S11_S12_NST_IJLi9ELi10EEEENST_IJLi11EEEEEEENST_IJLi8ELi9ELi10ELi11EEEElEENS5_IJNSB_INS5_IJSK_SP_SP_NSQ_INS5_IJiS2B_NS27_IiLi64EEEEEELb0EEES2W_EEENS5_IJSU_SV_SW_SX_SY_EEENS5_IJS1M_SX_SY_NST_IJLi5ELi6ELi7EEEENST_IJLi8ELi9ELi10EEEEEEENST_IJLi5ELi6ELi7ELi8ELi9ELi10EEEElEEEEES33_NS_31BlockToCTileMap_M00_N00_M01_N01ILi128ELi128ES1V_Lb0EEENS1_30ComputePtrOffsetOfStridedBatchILi1ELi1ELi1EvEELb1ELb1EEEvPKT0_S3B_T1_PT2_T3_T4_T5_iT6_T7_T8_T9_T10_T11_.has_recursion, 0
	.set _ZN2ck16tensor_operation6device12_GLOBAL__N_137kernel_grouped_conv_fwd_dl_multiple_dINS_32GridwiseGemmDlMultipleD_km_kn_mnILi256EDF16_fNS_5TupleIJDF16_EEEDF16_NS0_12element_wise11PassThroughES8_NS7_7AddReluELNS_25InMemoryDataOperationEnumE0ENS_16TensorDescriptorINS5_IJNS_5EmbedINS5_IJiiiiEEESD_Lb0EEENS_11PassThroughIiEENS_3PadIiiiLb0EEESI_SG_SG_NSC_INS5_IJiiEEESJ_Lb0EEESK_SG_NS_23Merge_v2_magic_divisionINS5_IJiiiEEEEESN_NS_8RightPadIiiLb0EEESP_NS_7UnMergeISJ_Lb0EEESG_EEENS5_IJNS_8SequenceIJLi0EEEENST_IJLi1EEEENST_IJLi2EEEENST_IJLi3EEEENST_IJLi4EEEENST_IJLi5EEEENST_IJLi6EEEENST_IJLi7EEEENST_IJLi8EEEENST_IJLi9ELi11ELi13EEEENST_IJLi10ELi12ELi14EEEENST_IJLi15EEEENST_IJLi16EEEENST_IJLi18EEEENST_IJLi17EEEEEEENS5_IJNST_IJLi1ELi2ELi3ELi4EEEESZ_S10_S11_S12_NST_IJLi9EEEENST_IJLi10ELi11EEEENST_IJLi12ELi13EEEENST_IJLi14EEEES15_S16_S18_S17_NST_IJLi19ELi20EEEENST_IJLi21EEEEEEENST_IJLi19ELi21ELi20EEEElEENSB_INS5_IJSR_SP_SP_SR_SG_EEENS5_IJSU_SV_SW_SY_SX_EEENS5_IJNST_IJLi1ELi2EEEESX_SY_NST_IJLi5ELi6EEEES11_EEENST_IJLi5ELi7ELi6EEEElEENSB_INS5_IJSK_SP_SP_EEENS5_IJSU_SV_SW_EEENS5_IJS1M_SX_SY_EEENST_IJLi3ELi4EEEElEELi128ELi128ELi16ELi2ELi4ELi4ELi1ENST_IJLi8ELi2EEEES1W_NST_IJLi8ELi1ELi1ELi2EEEENST_IJLi2ELi1ELi128ELi1EEEENST_IJLi1ELi2ELi0ELi3EEEES1Z_NST_IJLi4ELi1ELi1ELi2EEEES1Z_NST_IJLi1ELi1ELi1ELi2EEEES1X_S1Y_S1Z_S1Z_S20_S1Z_S21_NST_IJLi0ELi1ELi2ELi3ELi4ELi5EEEELi5ELi4EEEDF16_NS5_IJPKDF16_EEEDF16_S8_S8_S9_NSB_INS5_IJSE_SG_SI_SI_SG_SG_SK_SK_SG_SN_SN_SP_SP_SR_SG_SG_NSQ_INS5_IJiNS_17integral_constantIiLi128EEEEEELb0EEENSF_INS27_IiLi2EEEEEEEENS5_IJSU_SV_SW_SX_SY_SZ_S10_S11_S12_S13_S14_S15_S16_S17_S18_NST_IJLi19EEEES1G_NST_IJLi20EEEEEEENS5_IJS1A_SZ_S10_S11_S12_S1B_S1C_S1D_S1E_S15_S16_S18_S17_S1F_S1G_NST_IJLi22EEEENST_IJLi23ELi24EEEENST_IJLi25EEEEEEENST_IJLi22ELi23ELi24ELi25EEEElEENSB_INS5_IJSR_SP_SP_SR_SG_SG_S2A_S2C_EEENS5_IJSU_SV_SW_SY_SX_SZ_S11_S10_EEENS5_IJS1M_SX_SY_S1N_S11_S12_NST_IJLi9ELi10EEEENST_IJLi11EEEEEEENST_IJLi8ELi9ELi10ELi11EEEElEENS5_IJNSB_INS5_IJSK_SP_SP_NSQ_INS5_IJiS2B_NS27_IiLi64EEEEEELb0EEES2W_EEENS5_IJSU_SV_SW_SX_SY_EEENS5_IJS1M_SX_SY_NST_IJLi5ELi6ELi7EEEENST_IJLi8ELi9ELi10EEEEEEENST_IJLi5ELi6ELi7ELi8ELi9ELi10EEEElEEEEES33_NS_31BlockToCTileMap_M00_N00_M01_N01ILi128ELi128ES1V_Lb0EEENS1_30ComputePtrOffsetOfStridedBatchILi1ELi1ELi1EvEELb1ELb1EEEvPKT0_S3B_T1_PT2_T3_T4_T5_iT6_T7_T8_T9_T10_T11_.has_indirect_call, 0
	.section	.AMDGPU.csdata,"",@progbits
; Kernel info:
; codeLenInByte = 43624
; TotalNumSgprs: 84
; NumVgprs: 128
; ScratchSize: 164
; MemoryBound: 0
; FloatMode: 240
; IeeeMode: 1
; LDSByteSize: 32768 bytes/workgroup (compile time only)
; SGPRBlocks: 12
; VGPRBlocks: 31
; NumSGPRsForWavesPerEU: 102
; NumVGPRsForWavesPerEU: 128
; Occupancy: 2
; WaveLimiterHint : 0
; COMPUTE_PGM_RSRC2:SCRATCH_EN: 1
; COMPUTE_PGM_RSRC2:USER_SGPR: 6
; COMPUTE_PGM_RSRC2:TRAP_HANDLER: 0
; COMPUTE_PGM_RSRC2:TGID_X_EN: 1
; COMPUTE_PGM_RSRC2:TGID_Y_EN: 0
; COMPUTE_PGM_RSRC2:TGID_Z_EN: 0
; COMPUTE_PGM_RSRC2:TIDIG_COMP_CNT: 0
	.section	.text._ZN2ck16tensor_operation6device12_GLOBAL__N_137kernel_grouped_conv_fwd_dl_multiple_dINS_32GridwiseGemmDlMultipleD_km_kn_mnILi256EDF16_fNS_5TupleIJDF16_EEEDF16_NS0_12element_wise11PassThroughES8_NS7_7AddReluELNS_25InMemoryDataOperationEnumE0ENS_16TensorDescriptorINS5_IJNS_5EmbedINS5_IJiiiiEEESD_Lb0EEENS_11PassThroughIiEENS_3PadIiiiLb0EEESI_SG_SG_NSC_INS5_IJiiEEESJ_Lb0EEESK_SG_NS_23Merge_v2_magic_divisionINS5_IJiiiEEEEESN_NS_8RightPadIiiLb0EEESP_NS_7UnMergeISJ_Lb0EEESG_EEENS5_IJNS_8SequenceIJLi0EEEENST_IJLi1EEEENST_IJLi2EEEENST_IJLi3EEEENST_IJLi4EEEENST_IJLi5EEEENST_IJLi6EEEENST_IJLi7EEEENST_IJLi8EEEENST_IJLi9ELi11ELi13EEEENST_IJLi10ELi12ELi14EEEENST_IJLi15EEEENST_IJLi16EEEENST_IJLi18EEEENST_IJLi17EEEEEEENS5_IJNST_IJLi1ELi2ELi3ELi4EEEESZ_S10_S11_S12_NST_IJLi9EEEENST_IJLi10ELi11EEEENST_IJLi12ELi13EEEENST_IJLi14EEEES15_S16_S18_S17_NST_IJLi19ELi20EEEENST_IJLi21EEEEEEENST_IJLi19ELi21ELi20EEEElEENSB_INS5_IJSR_SP_SP_SR_SG_EEENS5_IJSU_SV_SW_SY_SX_EEENS5_IJNST_IJLi1ELi2EEEESX_SY_NST_IJLi5ELi6EEEES11_EEENST_IJLi5ELi7ELi6EEEElEENSB_INS5_IJSK_SP_SP_EEENS5_IJSU_SV_SW_EEENS5_IJS1M_SX_SY_EEENST_IJLi3ELi4EEEElEELi128ELi128ELi16ELi2ELi4ELi4ELi1ENST_IJLi8ELi2EEEES1W_NST_IJLi8ELi1ELi1ELi2EEEENST_IJLi2ELi1ELi128ELi1EEEENST_IJLi1ELi2ELi0ELi3EEEES1Z_NST_IJLi4ELi1ELi1ELi2EEEES1Z_NST_IJLi1ELi1ELi1ELi2EEEES1X_S1Y_S1Z_S1Z_S20_S1Z_S21_NST_IJLi0ELi1ELi2ELi3ELi4ELi5EEEELi5ELi4EEEDF16_NS5_IJPKDF16_EEEDF16_S8_S8_S9_NSB_INS5_IJSE_SG_SI_SI_SG_SG_SK_SK_SG_SN_SN_SP_SP_SR_SG_SG_NSQ_INS5_IJiNS_17integral_constantIiLi128EEEEEELb0EEENSF_INS27_IiLi2EEEEEEEENS5_IJSU_SV_SW_SX_SY_SZ_S10_S11_S12_S13_S14_S15_S16_S17_S18_NST_IJLi19EEEES1G_NST_IJLi20EEEEEEENS5_IJS1A_SZ_S10_S11_S12_S1B_S1C_S1D_S1E_S15_S16_S18_S17_S1F_S1G_NST_IJLi22EEEENST_IJLi23ELi24EEEENST_IJLi25EEEEEEENST_IJLi22ELi23ELi24ELi25EEEElEENSB_INS5_IJSR_SP_SP_SR_SG_SG_S2A_S2C_EEENS5_IJSU_SV_SW_SY_SX_SZ_S11_S10_EEENS5_IJS1M_SX_SY_S1N_S11_S12_NST_IJLi9ELi10EEEENST_IJLi11EEEEEEENST_IJLi8ELi9ELi10ELi11EEEElEENS5_IJNSB_INS5_IJSK_SP_SP_NSQ_INS5_IJiS2B_NS27_IiLi64EEEEEELb0EEES2W_EEENS5_IJSU_SV_SW_SX_SY_EEENS5_IJS1M_SX_SY_NST_IJLi5ELi6ELi7EEEENST_IJLi8ELi9ELi10EEEEEEENST_IJLi5ELi6ELi7ELi8ELi9ELi10EEEElEEEEES33_NS_31BlockToCTileMap_M00_N00_M01_N01ILi128ELi128ES1V_Lb0EEENS1_30ComputePtrOffsetOfStridedBatchILi1ELi1ELi1EvEELb1ELb0EEEvPKT0_S3B_T1_PT2_T3_T4_T5_iT6_T7_T8_T9_T10_T11_,"axG",@progbits,_ZN2ck16tensor_operation6device12_GLOBAL__N_137kernel_grouped_conv_fwd_dl_multiple_dINS_32GridwiseGemmDlMultipleD_km_kn_mnILi256EDF16_fNS_5TupleIJDF16_EEEDF16_NS0_12element_wise11PassThroughES8_NS7_7AddReluELNS_25InMemoryDataOperationEnumE0ENS_16TensorDescriptorINS5_IJNS_5EmbedINS5_IJiiiiEEESD_Lb0EEENS_11PassThroughIiEENS_3PadIiiiLb0EEESI_SG_SG_NSC_INS5_IJiiEEESJ_Lb0EEESK_SG_NS_23Merge_v2_magic_divisionINS5_IJiiiEEEEESN_NS_8RightPadIiiLb0EEESP_NS_7UnMergeISJ_Lb0EEESG_EEENS5_IJNS_8SequenceIJLi0EEEENST_IJLi1EEEENST_IJLi2EEEENST_IJLi3EEEENST_IJLi4EEEENST_IJLi5EEEENST_IJLi6EEEENST_IJLi7EEEENST_IJLi8EEEENST_IJLi9ELi11ELi13EEEENST_IJLi10ELi12ELi14EEEENST_IJLi15EEEENST_IJLi16EEEENST_IJLi18EEEENST_IJLi17EEEEEEENS5_IJNST_IJLi1ELi2ELi3ELi4EEEESZ_S10_S11_S12_NST_IJLi9EEEENST_IJLi10ELi11EEEENST_IJLi12ELi13EEEENST_IJLi14EEEES15_S16_S18_S17_NST_IJLi19ELi20EEEENST_IJLi21EEEEEEENST_IJLi19ELi21ELi20EEEElEENSB_INS5_IJSR_SP_SP_SR_SG_EEENS5_IJSU_SV_SW_SY_SX_EEENS5_IJNST_IJLi1ELi2EEEESX_SY_NST_IJLi5ELi6EEEES11_EEENST_IJLi5ELi7ELi6EEEElEENSB_INS5_IJSK_SP_SP_EEENS5_IJSU_SV_SW_EEENS5_IJS1M_SX_SY_EEENST_IJLi3ELi4EEEElEELi128ELi128ELi16ELi2ELi4ELi4ELi1ENST_IJLi8ELi2EEEES1W_NST_IJLi8ELi1ELi1ELi2EEEENST_IJLi2ELi1ELi128ELi1EEEENST_IJLi1ELi2ELi0ELi3EEEES1Z_NST_IJLi4ELi1ELi1ELi2EEEES1Z_NST_IJLi1ELi1ELi1ELi2EEEES1X_S1Y_S1Z_S1Z_S20_S1Z_S21_NST_IJLi0ELi1ELi2ELi3ELi4ELi5EEEELi5ELi4EEEDF16_NS5_IJPKDF16_EEEDF16_S8_S8_S9_NSB_INS5_IJSE_SG_SI_SI_SG_SG_SK_SK_SG_SN_SN_SP_SP_SR_SG_SG_NSQ_INS5_IJiNS_17integral_constantIiLi128EEEEEELb0EEENSF_INS27_IiLi2EEEEEEEENS5_IJSU_SV_SW_SX_SY_SZ_S10_S11_S12_S13_S14_S15_S16_S17_S18_NST_IJLi19EEEES1G_NST_IJLi20EEEEEEENS5_IJS1A_SZ_S10_S11_S12_S1B_S1C_S1D_S1E_S15_S16_S18_S17_S1F_S1G_NST_IJLi22EEEENST_IJLi23ELi24EEEENST_IJLi25EEEEEEENST_IJLi22ELi23ELi24ELi25EEEElEENSB_INS5_IJSR_SP_SP_SR_SG_SG_S2A_S2C_EEENS5_IJSU_SV_SW_SY_SX_SZ_S11_S10_EEENS5_IJS1M_SX_SY_S1N_S11_S12_NST_IJLi9ELi10EEEENST_IJLi11EEEEEEENST_IJLi8ELi9ELi10ELi11EEEElEENS5_IJNSB_INS5_IJSK_SP_SP_NSQ_INS5_IJiS2B_NS27_IiLi64EEEEEELb0EEES2W_EEENS5_IJSU_SV_SW_SX_SY_EEENS5_IJS1M_SX_SY_NST_IJLi5ELi6ELi7EEEENST_IJLi8ELi9ELi10EEEEEEENST_IJLi5ELi6ELi7ELi8ELi9ELi10EEEElEEEEES33_NS_31BlockToCTileMap_M00_N00_M01_N01ILi128ELi128ES1V_Lb0EEENS1_30ComputePtrOffsetOfStridedBatchILi1ELi1ELi1EvEELb1ELb0EEEvPKT0_S3B_T1_PT2_T3_T4_T5_iT6_T7_T8_T9_T10_T11_,comdat
	.globl	_ZN2ck16tensor_operation6device12_GLOBAL__N_137kernel_grouped_conv_fwd_dl_multiple_dINS_32GridwiseGemmDlMultipleD_km_kn_mnILi256EDF16_fNS_5TupleIJDF16_EEEDF16_NS0_12element_wise11PassThroughES8_NS7_7AddReluELNS_25InMemoryDataOperationEnumE0ENS_16TensorDescriptorINS5_IJNS_5EmbedINS5_IJiiiiEEESD_Lb0EEENS_11PassThroughIiEENS_3PadIiiiLb0EEESI_SG_SG_NSC_INS5_IJiiEEESJ_Lb0EEESK_SG_NS_23Merge_v2_magic_divisionINS5_IJiiiEEEEESN_NS_8RightPadIiiLb0EEESP_NS_7UnMergeISJ_Lb0EEESG_EEENS5_IJNS_8SequenceIJLi0EEEENST_IJLi1EEEENST_IJLi2EEEENST_IJLi3EEEENST_IJLi4EEEENST_IJLi5EEEENST_IJLi6EEEENST_IJLi7EEEENST_IJLi8EEEENST_IJLi9ELi11ELi13EEEENST_IJLi10ELi12ELi14EEEENST_IJLi15EEEENST_IJLi16EEEENST_IJLi18EEEENST_IJLi17EEEEEEENS5_IJNST_IJLi1ELi2ELi3ELi4EEEESZ_S10_S11_S12_NST_IJLi9EEEENST_IJLi10ELi11EEEENST_IJLi12ELi13EEEENST_IJLi14EEEES15_S16_S18_S17_NST_IJLi19ELi20EEEENST_IJLi21EEEEEEENST_IJLi19ELi21ELi20EEEElEENSB_INS5_IJSR_SP_SP_SR_SG_EEENS5_IJSU_SV_SW_SY_SX_EEENS5_IJNST_IJLi1ELi2EEEESX_SY_NST_IJLi5ELi6EEEES11_EEENST_IJLi5ELi7ELi6EEEElEENSB_INS5_IJSK_SP_SP_EEENS5_IJSU_SV_SW_EEENS5_IJS1M_SX_SY_EEENST_IJLi3ELi4EEEElEELi128ELi128ELi16ELi2ELi4ELi4ELi1ENST_IJLi8ELi2EEEES1W_NST_IJLi8ELi1ELi1ELi2EEEENST_IJLi2ELi1ELi128ELi1EEEENST_IJLi1ELi2ELi0ELi3EEEES1Z_NST_IJLi4ELi1ELi1ELi2EEEES1Z_NST_IJLi1ELi1ELi1ELi2EEEES1X_S1Y_S1Z_S1Z_S20_S1Z_S21_NST_IJLi0ELi1ELi2ELi3ELi4ELi5EEEELi5ELi4EEEDF16_NS5_IJPKDF16_EEEDF16_S8_S8_S9_NSB_INS5_IJSE_SG_SI_SI_SG_SG_SK_SK_SG_SN_SN_SP_SP_SR_SG_SG_NSQ_INS5_IJiNS_17integral_constantIiLi128EEEEEELb0EEENSF_INS27_IiLi2EEEEEEEENS5_IJSU_SV_SW_SX_SY_SZ_S10_S11_S12_S13_S14_S15_S16_S17_S18_NST_IJLi19EEEES1G_NST_IJLi20EEEEEEENS5_IJS1A_SZ_S10_S11_S12_S1B_S1C_S1D_S1E_S15_S16_S18_S17_S1F_S1G_NST_IJLi22EEEENST_IJLi23ELi24EEEENST_IJLi25EEEEEEENST_IJLi22ELi23ELi24ELi25EEEElEENSB_INS5_IJSR_SP_SP_SR_SG_SG_S2A_S2C_EEENS5_IJSU_SV_SW_SY_SX_SZ_S11_S10_EEENS5_IJS1M_SX_SY_S1N_S11_S12_NST_IJLi9ELi10EEEENST_IJLi11EEEEEEENST_IJLi8ELi9ELi10ELi11EEEElEENS5_IJNSB_INS5_IJSK_SP_SP_NSQ_INS5_IJiS2B_NS27_IiLi64EEEEEELb0EEES2W_EEENS5_IJSU_SV_SW_SX_SY_EEENS5_IJS1M_SX_SY_NST_IJLi5ELi6ELi7EEEENST_IJLi8ELi9ELi10EEEEEEENST_IJLi5ELi6ELi7ELi8ELi9ELi10EEEElEEEEES33_NS_31BlockToCTileMap_M00_N00_M01_N01ILi128ELi128ES1V_Lb0EEENS1_30ComputePtrOffsetOfStridedBatchILi1ELi1ELi1EvEELb1ELb0EEEvPKT0_S3B_T1_PT2_T3_T4_T5_iT6_T7_T8_T9_T10_T11_ ; -- Begin function _ZN2ck16tensor_operation6device12_GLOBAL__N_137kernel_grouped_conv_fwd_dl_multiple_dINS_32GridwiseGemmDlMultipleD_km_kn_mnILi256EDF16_fNS_5TupleIJDF16_EEEDF16_NS0_12element_wise11PassThroughES8_NS7_7AddReluELNS_25InMemoryDataOperationEnumE0ENS_16TensorDescriptorINS5_IJNS_5EmbedINS5_IJiiiiEEESD_Lb0EEENS_11PassThroughIiEENS_3PadIiiiLb0EEESI_SG_SG_NSC_INS5_IJiiEEESJ_Lb0EEESK_SG_NS_23Merge_v2_magic_divisionINS5_IJiiiEEEEESN_NS_8RightPadIiiLb0EEESP_NS_7UnMergeISJ_Lb0EEESG_EEENS5_IJNS_8SequenceIJLi0EEEENST_IJLi1EEEENST_IJLi2EEEENST_IJLi3EEEENST_IJLi4EEEENST_IJLi5EEEENST_IJLi6EEEENST_IJLi7EEEENST_IJLi8EEEENST_IJLi9ELi11ELi13EEEENST_IJLi10ELi12ELi14EEEENST_IJLi15EEEENST_IJLi16EEEENST_IJLi18EEEENST_IJLi17EEEEEEENS5_IJNST_IJLi1ELi2ELi3ELi4EEEESZ_S10_S11_S12_NST_IJLi9EEEENST_IJLi10ELi11EEEENST_IJLi12ELi13EEEENST_IJLi14EEEES15_S16_S18_S17_NST_IJLi19ELi20EEEENST_IJLi21EEEEEEENST_IJLi19ELi21ELi20EEEElEENSB_INS5_IJSR_SP_SP_SR_SG_EEENS5_IJSU_SV_SW_SY_SX_EEENS5_IJNST_IJLi1ELi2EEEESX_SY_NST_IJLi5ELi6EEEES11_EEENST_IJLi5ELi7ELi6EEEElEENSB_INS5_IJSK_SP_SP_EEENS5_IJSU_SV_SW_EEENS5_IJS1M_SX_SY_EEENST_IJLi3ELi4EEEElEELi128ELi128ELi16ELi2ELi4ELi4ELi1ENST_IJLi8ELi2EEEES1W_NST_IJLi8ELi1ELi1ELi2EEEENST_IJLi2ELi1ELi128ELi1EEEENST_IJLi1ELi2ELi0ELi3EEEES1Z_NST_IJLi4ELi1ELi1ELi2EEEES1Z_NST_IJLi1ELi1ELi1ELi2EEEES1X_S1Y_S1Z_S1Z_S20_S1Z_S21_NST_IJLi0ELi1ELi2ELi3ELi4ELi5EEEELi5ELi4EEEDF16_NS5_IJPKDF16_EEEDF16_S8_S8_S9_NSB_INS5_IJSE_SG_SI_SI_SG_SG_SK_SK_SG_SN_SN_SP_SP_SR_SG_SG_NSQ_INS5_IJiNS_17integral_constantIiLi128EEEEEELb0EEENSF_INS27_IiLi2EEEEEEEENS5_IJSU_SV_SW_SX_SY_SZ_S10_S11_S12_S13_S14_S15_S16_S17_S18_NST_IJLi19EEEES1G_NST_IJLi20EEEEEEENS5_IJS1A_SZ_S10_S11_S12_S1B_S1C_S1D_S1E_S15_S16_S18_S17_S1F_S1G_NST_IJLi22EEEENST_IJLi23ELi24EEEENST_IJLi25EEEEEEENST_IJLi22ELi23ELi24ELi25EEEElEENSB_INS5_IJSR_SP_SP_SR_SG_SG_S2A_S2C_EEENS5_IJSU_SV_SW_SY_SX_SZ_S11_S10_EEENS5_IJS1M_SX_SY_S1N_S11_S12_NST_IJLi9ELi10EEEENST_IJLi11EEEEEEENST_IJLi8ELi9ELi10ELi11EEEElEENS5_IJNSB_INS5_IJSK_SP_SP_NSQ_INS5_IJiS2B_NS27_IiLi64EEEEEELb0EEES2W_EEENS5_IJSU_SV_SW_SX_SY_EEENS5_IJS1M_SX_SY_NST_IJLi5ELi6ELi7EEEENST_IJLi8ELi9ELi10EEEEEEENST_IJLi5ELi6ELi7ELi8ELi9ELi10EEEElEEEEES33_NS_31BlockToCTileMap_M00_N00_M01_N01ILi128ELi128ES1V_Lb0EEENS1_30ComputePtrOffsetOfStridedBatchILi1ELi1ELi1EvEELb1ELb0EEEvPKT0_S3B_T1_PT2_T3_T4_T5_iT6_T7_T8_T9_T10_T11_
	.p2align	8
	.type	_ZN2ck16tensor_operation6device12_GLOBAL__N_137kernel_grouped_conv_fwd_dl_multiple_dINS_32GridwiseGemmDlMultipleD_km_kn_mnILi256EDF16_fNS_5TupleIJDF16_EEEDF16_NS0_12element_wise11PassThroughES8_NS7_7AddReluELNS_25InMemoryDataOperationEnumE0ENS_16TensorDescriptorINS5_IJNS_5EmbedINS5_IJiiiiEEESD_Lb0EEENS_11PassThroughIiEENS_3PadIiiiLb0EEESI_SG_SG_NSC_INS5_IJiiEEESJ_Lb0EEESK_SG_NS_23Merge_v2_magic_divisionINS5_IJiiiEEEEESN_NS_8RightPadIiiLb0EEESP_NS_7UnMergeISJ_Lb0EEESG_EEENS5_IJNS_8SequenceIJLi0EEEENST_IJLi1EEEENST_IJLi2EEEENST_IJLi3EEEENST_IJLi4EEEENST_IJLi5EEEENST_IJLi6EEEENST_IJLi7EEEENST_IJLi8EEEENST_IJLi9ELi11ELi13EEEENST_IJLi10ELi12ELi14EEEENST_IJLi15EEEENST_IJLi16EEEENST_IJLi18EEEENST_IJLi17EEEEEEENS5_IJNST_IJLi1ELi2ELi3ELi4EEEESZ_S10_S11_S12_NST_IJLi9EEEENST_IJLi10ELi11EEEENST_IJLi12ELi13EEEENST_IJLi14EEEES15_S16_S18_S17_NST_IJLi19ELi20EEEENST_IJLi21EEEEEEENST_IJLi19ELi21ELi20EEEElEENSB_INS5_IJSR_SP_SP_SR_SG_EEENS5_IJSU_SV_SW_SY_SX_EEENS5_IJNST_IJLi1ELi2EEEESX_SY_NST_IJLi5ELi6EEEES11_EEENST_IJLi5ELi7ELi6EEEElEENSB_INS5_IJSK_SP_SP_EEENS5_IJSU_SV_SW_EEENS5_IJS1M_SX_SY_EEENST_IJLi3ELi4EEEElEELi128ELi128ELi16ELi2ELi4ELi4ELi1ENST_IJLi8ELi2EEEES1W_NST_IJLi8ELi1ELi1ELi2EEEENST_IJLi2ELi1ELi128ELi1EEEENST_IJLi1ELi2ELi0ELi3EEEES1Z_NST_IJLi4ELi1ELi1ELi2EEEES1Z_NST_IJLi1ELi1ELi1ELi2EEEES1X_S1Y_S1Z_S1Z_S20_S1Z_S21_NST_IJLi0ELi1ELi2ELi3ELi4ELi5EEEELi5ELi4EEEDF16_NS5_IJPKDF16_EEEDF16_S8_S8_S9_NSB_INS5_IJSE_SG_SI_SI_SG_SG_SK_SK_SG_SN_SN_SP_SP_SR_SG_SG_NSQ_INS5_IJiNS_17integral_constantIiLi128EEEEEELb0EEENSF_INS27_IiLi2EEEEEEEENS5_IJSU_SV_SW_SX_SY_SZ_S10_S11_S12_S13_S14_S15_S16_S17_S18_NST_IJLi19EEEES1G_NST_IJLi20EEEEEEENS5_IJS1A_SZ_S10_S11_S12_S1B_S1C_S1D_S1E_S15_S16_S18_S17_S1F_S1G_NST_IJLi22EEEENST_IJLi23ELi24EEEENST_IJLi25EEEEEEENST_IJLi22ELi23ELi24ELi25EEEElEENSB_INS5_IJSR_SP_SP_SR_SG_SG_S2A_S2C_EEENS5_IJSU_SV_SW_SY_SX_SZ_S11_S10_EEENS5_IJS1M_SX_SY_S1N_S11_S12_NST_IJLi9ELi10EEEENST_IJLi11EEEEEEENST_IJLi8ELi9ELi10ELi11EEEElEENS5_IJNSB_INS5_IJSK_SP_SP_NSQ_INS5_IJiS2B_NS27_IiLi64EEEEEELb0EEES2W_EEENS5_IJSU_SV_SW_SX_SY_EEENS5_IJS1M_SX_SY_NST_IJLi5ELi6ELi7EEEENST_IJLi8ELi9ELi10EEEEEEENST_IJLi5ELi6ELi7ELi8ELi9ELi10EEEElEEEEES33_NS_31BlockToCTileMap_M00_N00_M01_N01ILi128ELi128ES1V_Lb0EEENS1_30ComputePtrOffsetOfStridedBatchILi1ELi1ELi1EvEELb1ELb0EEEvPKT0_S3B_T1_PT2_T3_T4_T5_iT6_T7_T8_T9_T10_T11_,@function
_ZN2ck16tensor_operation6device12_GLOBAL__N_137kernel_grouped_conv_fwd_dl_multiple_dINS_32GridwiseGemmDlMultipleD_km_kn_mnILi256EDF16_fNS_5TupleIJDF16_EEEDF16_NS0_12element_wise11PassThroughES8_NS7_7AddReluELNS_25InMemoryDataOperationEnumE0ENS_16TensorDescriptorINS5_IJNS_5EmbedINS5_IJiiiiEEESD_Lb0EEENS_11PassThroughIiEENS_3PadIiiiLb0EEESI_SG_SG_NSC_INS5_IJiiEEESJ_Lb0EEESK_SG_NS_23Merge_v2_magic_divisionINS5_IJiiiEEEEESN_NS_8RightPadIiiLb0EEESP_NS_7UnMergeISJ_Lb0EEESG_EEENS5_IJNS_8SequenceIJLi0EEEENST_IJLi1EEEENST_IJLi2EEEENST_IJLi3EEEENST_IJLi4EEEENST_IJLi5EEEENST_IJLi6EEEENST_IJLi7EEEENST_IJLi8EEEENST_IJLi9ELi11ELi13EEEENST_IJLi10ELi12ELi14EEEENST_IJLi15EEEENST_IJLi16EEEENST_IJLi18EEEENST_IJLi17EEEEEEENS5_IJNST_IJLi1ELi2ELi3ELi4EEEESZ_S10_S11_S12_NST_IJLi9EEEENST_IJLi10ELi11EEEENST_IJLi12ELi13EEEENST_IJLi14EEEES15_S16_S18_S17_NST_IJLi19ELi20EEEENST_IJLi21EEEEEEENST_IJLi19ELi21ELi20EEEElEENSB_INS5_IJSR_SP_SP_SR_SG_EEENS5_IJSU_SV_SW_SY_SX_EEENS5_IJNST_IJLi1ELi2EEEESX_SY_NST_IJLi5ELi6EEEES11_EEENST_IJLi5ELi7ELi6EEEElEENSB_INS5_IJSK_SP_SP_EEENS5_IJSU_SV_SW_EEENS5_IJS1M_SX_SY_EEENST_IJLi3ELi4EEEElEELi128ELi128ELi16ELi2ELi4ELi4ELi1ENST_IJLi8ELi2EEEES1W_NST_IJLi8ELi1ELi1ELi2EEEENST_IJLi2ELi1ELi128ELi1EEEENST_IJLi1ELi2ELi0ELi3EEEES1Z_NST_IJLi4ELi1ELi1ELi2EEEES1Z_NST_IJLi1ELi1ELi1ELi2EEEES1X_S1Y_S1Z_S1Z_S20_S1Z_S21_NST_IJLi0ELi1ELi2ELi3ELi4ELi5EEEELi5ELi4EEEDF16_NS5_IJPKDF16_EEEDF16_S8_S8_S9_NSB_INS5_IJSE_SG_SI_SI_SG_SG_SK_SK_SG_SN_SN_SP_SP_SR_SG_SG_NSQ_INS5_IJiNS_17integral_constantIiLi128EEEEEELb0EEENSF_INS27_IiLi2EEEEEEEENS5_IJSU_SV_SW_SX_SY_SZ_S10_S11_S12_S13_S14_S15_S16_S17_S18_NST_IJLi19EEEES1G_NST_IJLi20EEEEEEENS5_IJS1A_SZ_S10_S11_S12_S1B_S1C_S1D_S1E_S15_S16_S18_S17_S1F_S1G_NST_IJLi22EEEENST_IJLi23ELi24EEEENST_IJLi25EEEEEEENST_IJLi22ELi23ELi24ELi25EEEElEENSB_INS5_IJSR_SP_SP_SR_SG_SG_S2A_S2C_EEENS5_IJSU_SV_SW_SY_SX_SZ_S11_S10_EEENS5_IJS1M_SX_SY_S1N_S11_S12_NST_IJLi9ELi10EEEENST_IJLi11EEEEEEENST_IJLi8ELi9ELi10ELi11EEEElEENS5_IJNSB_INS5_IJSK_SP_SP_NSQ_INS5_IJiS2B_NS27_IiLi64EEEEEELb0EEES2W_EEENS5_IJSU_SV_SW_SX_SY_EEENS5_IJS1M_SX_SY_NST_IJLi5ELi6ELi7EEEENST_IJLi8ELi9ELi10EEEEEEENST_IJLi5ELi6ELi7ELi8ELi9ELi10EEEElEEEEES33_NS_31BlockToCTileMap_M00_N00_M01_N01ILi128ELi128ES1V_Lb0EEENS1_30ComputePtrOffsetOfStridedBatchILi1ELi1ELi1EvEELb1ELb0EEEvPKT0_S3B_T1_PT2_T3_T4_T5_iT6_T7_T8_T9_T10_T11_: ; @_ZN2ck16tensor_operation6device12_GLOBAL__N_137kernel_grouped_conv_fwd_dl_multiple_dINS_32GridwiseGemmDlMultipleD_km_kn_mnILi256EDF16_fNS_5TupleIJDF16_EEEDF16_NS0_12element_wise11PassThroughES8_NS7_7AddReluELNS_25InMemoryDataOperationEnumE0ENS_16TensorDescriptorINS5_IJNS_5EmbedINS5_IJiiiiEEESD_Lb0EEENS_11PassThroughIiEENS_3PadIiiiLb0EEESI_SG_SG_NSC_INS5_IJiiEEESJ_Lb0EEESK_SG_NS_23Merge_v2_magic_divisionINS5_IJiiiEEEEESN_NS_8RightPadIiiLb0EEESP_NS_7UnMergeISJ_Lb0EEESG_EEENS5_IJNS_8SequenceIJLi0EEEENST_IJLi1EEEENST_IJLi2EEEENST_IJLi3EEEENST_IJLi4EEEENST_IJLi5EEEENST_IJLi6EEEENST_IJLi7EEEENST_IJLi8EEEENST_IJLi9ELi11ELi13EEEENST_IJLi10ELi12ELi14EEEENST_IJLi15EEEENST_IJLi16EEEENST_IJLi18EEEENST_IJLi17EEEEEEENS5_IJNST_IJLi1ELi2ELi3ELi4EEEESZ_S10_S11_S12_NST_IJLi9EEEENST_IJLi10ELi11EEEENST_IJLi12ELi13EEEENST_IJLi14EEEES15_S16_S18_S17_NST_IJLi19ELi20EEEENST_IJLi21EEEEEEENST_IJLi19ELi21ELi20EEEElEENSB_INS5_IJSR_SP_SP_SR_SG_EEENS5_IJSU_SV_SW_SY_SX_EEENS5_IJNST_IJLi1ELi2EEEESX_SY_NST_IJLi5ELi6EEEES11_EEENST_IJLi5ELi7ELi6EEEElEENSB_INS5_IJSK_SP_SP_EEENS5_IJSU_SV_SW_EEENS5_IJS1M_SX_SY_EEENST_IJLi3ELi4EEEElEELi128ELi128ELi16ELi2ELi4ELi4ELi1ENST_IJLi8ELi2EEEES1W_NST_IJLi8ELi1ELi1ELi2EEEENST_IJLi2ELi1ELi128ELi1EEEENST_IJLi1ELi2ELi0ELi3EEEES1Z_NST_IJLi4ELi1ELi1ELi2EEEES1Z_NST_IJLi1ELi1ELi1ELi2EEEES1X_S1Y_S1Z_S1Z_S20_S1Z_S21_NST_IJLi0ELi1ELi2ELi3ELi4ELi5EEEELi5ELi4EEEDF16_NS5_IJPKDF16_EEEDF16_S8_S8_S9_NSB_INS5_IJSE_SG_SI_SI_SG_SG_SK_SK_SG_SN_SN_SP_SP_SR_SG_SG_NSQ_INS5_IJiNS_17integral_constantIiLi128EEEEEELb0EEENSF_INS27_IiLi2EEEEEEEENS5_IJSU_SV_SW_SX_SY_SZ_S10_S11_S12_S13_S14_S15_S16_S17_S18_NST_IJLi19EEEES1G_NST_IJLi20EEEEEEENS5_IJS1A_SZ_S10_S11_S12_S1B_S1C_S1D_S1E_S15_S16_S18_S17_S1F_S1G_NST_IJLi22EEEENST_IJLi23ELi24EEEENST_IJLi25EEEEEEENST_IJLi22ELi23ELi24ELi25EEEElEENSB_INS5_IJSR_SP_SP_SR_SG_SG_S2A_S2C_EEENS5_IJSU_SV_SW_SY_SX_SZ_S11_S10_EEENS5_IJS1M_SX_SY_S1N_S11_S12_NST_IJLi9ELi10EEEENST_IJLi11EEEEEEENST_IJLi8ELi9ELi10ELi11EEEElEENS5_IJNSB_INS5_IJSK_SP_SP_NSQ_INS5_IJiS2B_NS27_IiLi64EEEEEELb0EEES2W_EEENS5_IJSU_SV_SW_SX_SY_EEENS5_IJS1M_SX_SY_NST_IJLi5ELi6ELi7EEEENST_IJLi8ELi9ELi10EEEEEEENST_IJLi5ELi6ELi7ELi8ELi9ELi10EEEElEEEEES33_NS_31BlockToCTileMap_M00_N00_M01_N01ILi128ELi128ES1V_Lb0EEENS1_30ComputePtrOffsetOfStridedBatchILi1ELi1ELi1EvEELb1ELb0EEEvPKT0_S3B_T1_PT2_T3_T4_T5_iT6_T7_T8_T9_T10_T11_
; %bb.0:
	s_mov_b64 s[78:79], s[2:3]
	s_mov_b64 s[76:77], s[0:1]
	s_add_u32 s76, s76, s7
	s_addc_u32 s77, s77, 0
	s_load_dwordx4 s[0:3], s[4:5], 0x0
	s_load_dwordx2 s[54:55], s[4:5], 0x18
	s_load_dword s8, s[4:5], 0x24
	s_load_dwordx4 s[16:19], s[4:5], 0x38
	s_load_dword s66, s[4:5], 0x50
	s_load_dwordx4 s[28:31], s[4:5], 0x4c
	;; [unrolled: 2-line block ×3, first 2 shown]
	s_load_dwordx2 s[56:57], s[4:5], 0x74
	s_load_dwordx2 s[58:59], s[4:5], 0x84
	;; [unrolled: 1-line block ×8, first 2 shown]
	s_waitcnt lgkmcnt(0)
	s_abs_i32 s9, s8
	v_cvt_f32_u32_e32 v1, s9
	s_load_dword s71, s[4:5], 0x100
	s_load_dword s73, s[4:5], 0x10c
	;; [unrolled: 1-line block ×7, first 2 shown]
	s_sub_i32 s11, 0, s9
	s_load_dword s72, s[4:5], 0x160
	s_load_dword s7, s[4:5], 0x188
	s_load_dwordx2 s[52:53], s[4:5], 0x198
	s_load_dword s29, s[4:5], 0x1a4
	s_load_dword s33, s[4:5], 0x1b0
	v_rcp_iflag_f32_e32 v1, v1
	s_load_dword s31, s[4:5], 0x244
	s_load_dword s39, s[4:5], 0x254
	s_load_dwordx4 s[40:43], s[4:5], 0x260
	s_waitcnt lgkmcnt(0)
	s_xor_b32 s8, s10, s8
	s_abs_i32 s10, s10
	v_mul_f32_e32 v1, 0x4f7ffffe, v1
	v_cvt_u32_f32_e32 v1, v1
	s_ashr_i32 s8, s8, 31
	v_lshrrev_b32_e32 v26, 1, v0
	v_lshlrev_b32_e32 v35, 1, v0
	v_readfirstlane_b32 s12, v1
	s_mul_i32 s11, s11, s12
	s_mul_hi_u32 s11, s12, s11
	s_add_i32 s12, s12, s11
	s_mul_hi_u32 s11, s10, s12
	s_mul_i32 s12, s11, s9
	s_sub_i32 s10, s10, s12
	s_add_i32 s12, s11, 1
	s_sub_i32 s13, s10, s9
	s_cmp_ge_u32 s10, s9
	s_cselect_b32 s11, s12, s11
	s_cselect_b32 s10, s13, s10
	s_add_i32 s12, s11, 1
	s_cmp_ge_u32 s10, s9
	s_cselect_b32 s9, s12, s11
	s_xor_b32 s9, s9, s8
	s_sub_i32 s20, s9, s8
	s_abs_i32 s24, s20
	v_cvt_f32_u32_e32 v1, s24
	s_sub_i32 s69, 0, s24
	s_abs_i32 s37, s6
	s_xor_b32 s20, s6, s20
	v_rcp_iflag_f32_e32 v1, v1
	s_ashr_i32 s20, s20, 31
	s_load_dwordx4 s[48:51], s[4:5], 0x274
	s_load_dwordx4 s[44:47], s[4:5], 0x288
	s_load_dwordx8 s[8:15], s[4:5], 0x2a0
	v_and_b32_e32 v36, 0x1f8, v35
	v_mul_f32_e32 v1, 0x4f7ffffe, v1
	v_cvt_u32_f32_e32 v1, v1
	v_mov_b32_e32 v51, 0
	v_mov_b32_e32 v58, 0
	;; [unrolled: 1-line block ×3, first 2 shown]
	v_readfirstlane_b32 s70, v1
	s_mul_i32 s69, s69, s70
	s_mul_hi_u32 s69, s70, s69
	s_add_i32 s70, s70, s69
	s_mul_hi_u32 s69, s37, s70
	s_mul_i32 s70, s69, s24
	s_sub_i32 s37, s37, s70
	s_add_i32 s70, s69, 1
	s_sub_i32 s75, s37, s24
	s_cmp_ge_u32 s37, s24
	s_cselect_b32 s69, s70, s69
	s_cselect_b32 s37, s75, s37
	s_add_i32 s70, s69, 1
	s_cmp_ge_u32 s37, s24
	s_cselect_b32 s24, s70, s69
	s_xor_b32 s24, s24, s20
	s_sub_i32 s69, s24, s20
	s_ashr_i32 s70, s69, 31
	s_waitcnt lgkmcnt(0)
	s_mul_i32 s20, s8, s70
	s_mul_hi_u32 s24, s8, s69
	s_add_i32 s20, s24, s20
	s_mul_i32 s9, s9, s69
	s_add_i32 s9, s20, s9
	s_mul_i32 s20, s10, s70
	s_mul_hi_u32 s24, s10, s69
	s_mul_i32 s8, s8, s69
	s_add_i32 s20, s24, s20
	s_mul_i32 s11, s11, s69
	s_add_i32 s11, s20, s11
	s_lshl_b64 s[8:9], s[8:9], 1
	s_mul_i32 s10, s10, s69
	s_add_u32 s20, s0, s8
	s_addc_u32 s8, s1, s9
	s_lshl_b64 s[0:1], s[10:11], 1
	s_add_u32 s24, s2, s0
	s_mul_hi_u32 s0, s51, s6
	s_addc_u32 s2, s3, s1
	s_add_i32 s0, s6, s0
	s_lshr_b32 s0, s0, s47
	s_mul_hi_u32 s3, s0, s50
	s_add_i32 s3, s0, s3
	s_lshr_b32 s3, s3, s46
	s_mul_i32 s9, s3, s42
	s_mul_i32 s1, s0, s43
	s_sub_i32 s37, s0, s9
	s_mul_hi_u32 s0, s3, s49
	v_lshlrev_b32_e32 v1, 3, v0
	s_add_i32 s0, s3, s0
	v_and_b32_e32 v11, 8, v1
	s_lshr_b32 s9, s0, s45
	v_mul_lo_u32 v24, s71, v11
	s_mul_hi_u32 s0, s9, s48
	s_add_i32 s0, s9, s0
	s_lshr_b32 s0, s0, s44
	s_mul_i32 s0, s0, s40
	v_mul_hi_u32 v1, v24, s63
	s_sub_i32 s0, s9, s0
	s_mul_i32 s0, s0, s31
	s_add_i32 s37, s37, s0
	v_lshl_or_b32 v28, s37, 7, v26
	v_add_u32_e32 v1, v24, v1
	v_lshrrev_b32_e32 v1, s65, v1
	v_mul_hi_u32 v3, v28, s35
	v_mul_hi_u32 v2, v1, s62
	v_mul_lo_u32 v7, v1, s61
	s_sub_i32 s6, s6, s1
	v_add_u32_e32 v3, v28, v3
	v_add_u32_e32 v2, v1, v2
	v_lshrrev_b32_e32 v3, s27, v3
	v_mul_hi_u32 v4, v3, s34
	v_lshrrev_b32_e32 v12, s64, v2
	v_mul_lo_u32 v2, v12, s60
	v_mul_lo_u32 v5, v3, s23
	v_add_u32_e32 v4, v3, v4
	v_lshrrev_b32_e32 v8, s26, v4
	v_sub_u32_e32 v13, v1, v2
	v_mul_lo_u32 v4, v8, s22
	v_mul_lo_u32 v1, v13, s58
	;; [unrolled: 1-line block ×3, first 2 shown]
	v_sub_u32_e32 v5, v28, v5
	v_sub_u32_e32 v3, v3, v4
	s_mul_i32 s9, s9, s41
	v_mad_u64_u32 v[4:5], s[0:1], v5, s59, v[1:2]
	v_mad_u64_u32 v[5:6], s[0:1], v3, s57, v[2:3]
	v_sub_u32_e32 v3, v24, v7
	v_mul_lo_u32 v7, v8, s16
	v_subrev_u32_e32 v1, s66, v5
	v_mul_lo_u32 v8, v1, s17
	v_mul_lo_u32 v1, v3, s19
	v_or_b32_e32 v6, 4, v11
	v_mul_lo_u32 v6, s71, v6
	v_subrev_u32_e32 v2, s67, v4
	v_mad_u64_u32 v[1:2], s[0:1], v2, s18, v[1:2]
	v_mul_hi_u32 v2, v6, s63
	s_sub_i32 s0, s3, s9
	v_add3_u32 v14, v1, v7, v8
	s_mul_i32 s0, s0, s39
	v_add_u32_e32 v1, v6, v2
	v_lshrrev_b32_e32 v1, s65, v1
	v_mul_hi_u32 v2, v1, s62
	v_mul_lo_u32 v15, v1, s61
	s_lshl_b32 s22, s21, 1
	s_and_b32 s21, s8, 0xffff
	v_add_u32_e32 v2, v1, v2
	v_lshrrev_b32_e32 v25, s64, v2
	v_mul_lo_u32 v2, v25, s60
	v_sub_u32_e32 v27, v6, v15
	v_sub_u32_e32 v3, v27, v3
	s_mov_b32 s23, 0x20000
	v_sub_u32_e32 v37, v1, v2
	v_sub_u32_e32 v1, v37, v13
	;; [unrolled: 1-line block ×3, first 2 shown]
	v_mul_lo_u32 v30, v1, s58
	v_mul_lo_u32 v31, v2, s56
	;; [unrolled: 1-line block ×3, first 2 shown]
	v_lshlrev_b32_e32 v7, 1, v14
	buffer_load_dwordx4 v[7:10], v7, s[20:23], 0 offen
	s_add_i32 s39, s6, s0
	v_mul_lo_u32 v3, v30, s18
	v_mad_u64_u32 v[1:2], s[0:1], v31, s17, v[1:2]
	v_lshl_or_b32 v32, s39, 7, v26
	v_mul_lo_u32 v33, s72, v11
	v_mul_lo_u32 v34, v32, s25
	v_add3_u32 v43, v1, v3, v14
	v_lshlrev_b32_e32 v2, 1, v43
	buffer_load_dwordx4 v[12:15], v2, s[20:23], 0 offen
	v_add_u32_e32 v2, v34, v33
	s_and_b32 s25, s2, 0xffff
	s_lshl_b32 s10, s7, 1
	s_mov_b32 s8, s24
	s_mov_b32 s9, s25
	;; [unrolled: 1-line block ×3, first 2 shown]
	v_lshlrev_b32_e32 v3, 1, v2
	buffer_load_dwordx4 v[16:19], v3, s[8:11], 0 offen
	s_lshl_b32 s44, s72, 2
	v_add_lshl_u32 v2, v2, s44, 1
	buffer_load_dwordx4 v[20:23], v2, s[8:11], 0 offen
	s_sub_i32 s36, s36, s38
	s_load_dword s2, s[4:5], 0xe4
	s_load_dword s11, s[4:5], 0xf0
	s_load_dwordx2 s[40:41], s[4:5], 0x228
	s_load_dwordx2 s[42:43], s[4:5], 0x1d8
	;; [unrolled: 1-line block ×3, first 2 shown]
	s_load_dword s16, s[4:5], 0x1f4
	s_load_dword s31, s[4:5], 0x200
	s_waitcnt lgkmcnt(0)
	v_cmp_gt_i32_e64 s[0:1], s11, v24
	v_cmp_gt_i32_e64 s[6:7], s36, v4
	v_cmp_gt_i32_e32 vcc, s2, v28
	v_cmp_le_i32_e64 s[2:3], s67, v4
	s_and_b64 s[0:1], s[6:7], s[0:1]
	s_sub_i32 s28, s28, s30
	s_and_b64 s[6:7], s[0:1], s[2:3]
	v_cmp_le_i32_e64 s[0:1], s66, v5
	v_cmp_gt_i32_e64 s[2:3], s28, v5
	v_lshrrev_b32_e32 v3, 5, v0
	s_and_b64 s[0:1], s[0:1], s[2:3]
	v_lshlrev_b32_e32 v2, 6, v3
	s_and_b64 s[0:1], s[6:7], s[0:1]
	v_sub_u32_e32 v2, v36, v2
	v_lshlrev_b32_e32 v0, 2, v0
	s_and_b64 s[0:1], vcc, s[0:1]
	v_add_u32_e32 v28, v4, v30
	v_and_or_b32 v1, v0, 4, v2
	v_lshlrev_b32_e32 v0, 3, v3
	v_cmp_gt_i32_e64 s[6:7], s36, v28
	v_and_or_b32 v0, v35, 4, v0
	v_add_u32_e32 v35, v5, v31
	v_cmp_le_i32_e64 s[2:3], s67, v28
	buffer_store_dword v6, off, s[76:79], 0 ; 4-byte Folded Spill
	s_lshl_b32 s46, s71, 2
	s_mov_b32 s41, 0
	s_mov_b32 s43, s63
	;; [unrolled: 1-line block ×4, first 2 shown]
	s_sub_i32 s10, s73, 32
	s_lshl_b32 s30, s72, 5
	s_lshl_b32 s38, s72, 6
	s_sub_i32 s45, 0, s61
	s_mov_b32 s47, 0
	v_mov_b32_e32 v50, 0
	v_mov_b32_e32 v56, 0
	;; [unrolled: 1-line block ×22, first 2 shown]
	s_waitcnt vmcnt(4)
	v_cndmask_b32_e64 v10, 0, v10, s[0:1]
	v_cndmask_b32_e64 v9, 0, v9, s[0:1]
	;; [unrolled: 1-line block ×4, first 2 shown]
	v_cmp_gt_i32_e64 s[0:1], s11, v6
	s_and_b64 s[0:1], s[6:7], s[0:1]
	s_and_b64 s[6:7], s[0:1], s[2:3]
	v_cmp_le_i32_e64 s[0:1], s66, v35
	v_cmp_gt_i32_e64 s[2:3], s28, v35
	s_and_b64 s[0:1], s[0:1], s[2:3]
	s_and_b64 s[0:1], s[6:7], s[0:1]
	s_and_b64 s[0:1], vcc, s[0:1]
	s_waitcnt vmcnt(3)
	v_cndmask_b32_e64 v4, 0, v15, s[0:1]
	v_cndmask_b32_e64 v5, 0, v14, s[0:1]
	;; [unrolled: 1-line block ×4, first 2 shown]
	v_cmp_gt_i32_e64 s[2:3], s68, v33
	v_cmp_gt_i32_e64 s[0:1], s74, v32
	s_and_b64 s[2:3], s[2:3], s[0:1]
	v_add_u32_e32 v7, s44, v33
	s_waitcnt vmcnt(2)
	v_cndmask_b32_e64 v14, 0, v19, s[2:3]
	v_cndmask_b32_e64 v15, 0, v18, s[2:3]
	;; [unrolled: 1-line block ×4, first 2 shown]
	v_cmp_gt_i32_e64 s[2:3], s68, v7
	s_and_b64 s[2:3], s[2:3], s[0:1]
	v_lshlrev_b32_e32 v7, 2, v26
	s_waitcnt vmcnt(1)
	v_cndmask_b32_e64 v19, 0, v22, s[2:3]
	v_lshl_or_b32 v7, v11, 9, v7
	v_cndmask_b32_e64 v18, 0, v23, s[2:3]
	v_cndmask_b32_e64 v21, 0, v21, s[2:3]
	;; [unrolled: 1-line block ×3, first 2 shown]
	ds_write2st64_b32 v7, v24, v8 offset1:2
	ds_write2st64_b32 v7, v9, v10 offset0:4 offset1:6
	ds_write2st64_b32 v7, v12, v13 offset0:8 offset1:10
	;; [unrolled: 1-line block ×7, first 2 shown]
	v_or_b32_e32 v19, 36, v11
	buffer_store_dword v0, off, s[76:79], 0 offset:124 ; 4-byte Folded Spill
	v_lshlrev_b32_e32 v4, 2, v0
	v_mul_lo_u32 v0, s72, v19
	v_or_b32_e32 v20, 32, v11
	buffer_store_dword v1, off, s[76:79], 0 offset:120 ; 4-byte Folded Spill
	v_lshlrev_b32_e32 v5, 2, v1
	v_mul_lo_u32 v1, s72, v20
	v_or_b32_e32 v18, 20, v11
	v_mul_lo_u32 v2, s72, v18
	v_or_b32_e32 v17, 16, v11
	v_mul_lo_u32 v3, s72, v17
	buffer_store_dword v0, off, s[76:79], 0 offset:72 ; 4-byte Folded Spill
	v_lshlrev_b32_e32 v0, 1, v0
	buffer_store_dword v0, off, s[76:79], 0 offset:88 ; 4-byte Folded Spill
	v_lshlrev_b32_e32 v0, 1, v1
	buffer_store_dword v1, off, s[76:79], 0 offset:76 ; 4-byte Folded Spill
	buffer_store_dword v0, off, s[76:79], 0 offset:92 ; 4-byte Folded Spill
	;; [unrolled: 1-line block ×3, first 2 shown]
	v_lshlrev_b32_e32 v0, 1, v2
	buffer_store_dword v0, off, s[76:79], 0 offset:96 ; 4-byte Folded Spill
	buffer_store_dword v3, off, s[76:79], 0 offset:84 ; 4-byte Folded Spill
	v_lshlrev_b32_e32 v0, 1, v3
	buffer_store_dword v0, off, s[76:79], 0 offset:100 ; 4-byte Folded Spill
	v_mul_lo_u32 v0, s71, v17
	v_mul_lo_u32 v1, s71, v18
	;; [unrolled: 1-line block ×4, first 2 shown]
	s_mul_i32 s2, s71, 12
	v_lshlrev_b32_e32 v6, 1, v34
	s_lshl_b32 s44, s71, 5
	v_mov_b32_e32 v33, 0
	s_add_i32 s46, s46, s2
	v_mov_b32_e32 v22, 0
	v_mov_b32_e32 v23, 0
	;; [unrolled: 1-line block ×38, first 2 shown]
	s_mov_b32 s48, 0
	buffer_store_dword v2, off, s[76:79], 0 offset:112 ; 4-byte Folded Spill
	buffer_store_dword v3, off, s[76:79], 0 offset:116 ; 4-byte Folded Spill
	;; [unrolled: 1-line block ×4, first 2 shown]
.LBB6_1:                                ; =>This Inner Loop Header: Depth=1
	buffer_store_dword v0, off, s[76:79], 0 offset:16 ; 4-byte Folded Spill
	buffer_store_dword v1, off, s[76:79], 0 offset:12 ; 4-byte Folded Spill
	;; [unrolled: 1-line block ×4, first 2 shown]
	v_mul_hi_u32 v30, s43, v0
	v_mul_hi_u32 v0, s43, v3
	;; [unrolled: 1-line block ×3, first 2 shown]
	s_add_i32 s48, s48, 32
	buffer_store_dword v0, off, s[76:79], 0 offset:28 ; 4-byte Folded Spill
	v_mul_hi_u32 v0, s43, v2
	buffer_store_dword v0, off, s[76:79], 0 offset:20 ; 4-byte Folded Spill
	buffer_load_dword v0, off, s[76:79], 0 offset:104 ; 4-byte Folded Reload
	s_waitcnt vmcnt(0)
	v_add_u32_e32 v32, s41, v0
	v_add_u32_e32 v30, v32, v30
	v_lshrrev_b32_e32 v30, s65, v30
	v_mul_lo_u32 v34, s45, v30
	v_add_u32_e32 v38, v32, v34
	v_sub_u32_e32 v26, v34, v27
	v_mul_hi_u32 v34, v30, s62
	v_add_u32_e32 v26, v32, v26
	v_add_u32_e32 v34, v30, v34
	v_lshrrev_b32_e32 v39, s64, v34
	v_mul_lo_u32 v34, v39, s60
	v_sub_u32_e32 v25, v39, v25
	v_mul_lo_u32 v0, v25, s56
	v_sub_u32_e32 v40, v30, v34
	v_sub_u32_e32 v27, v40, v37
	v_mul_lo_u32 v27, v27, s58
	v_add_u32_e32 v42, v0, v35
	v_mul_lo_u32 v25, v0, s17
	v_mad_u64_u32 v[0:1], s[2:3], v26, s19, v[43:44]
	v_add_u32_e32 v41, v27, v28
	v_mul_lo_u32 v27, v27, s18
	v_cmp_gt_i32_e64 s[2:3], s11, v32
	v_cmp_gt_i32_e64 s[8:9], s36, v41
	v_cmp_le_i32_e64 s[6:7], s67, v41
	v_add3_u32 v43, v0, v25, v27
	buffer_load_dword v0, off, s[76:79], 0 offset:84 ; 4-byte Folded Reload
	s_and_b64 s[2:3], s[8:9], s[2:3]
	s_and_b64 s[8:9], s[2:3], s[6:7]
	v_cmp_le_i32_e64 s[2:3], s66, v42
	v_cmp_gt_i32_e64 s[6:7], s28, v42
	s_and_b64 s[2:3], s[2:3], s[6:7]
	s_and_b64 s[2:3], s[2:3], s[8:9]
	s_and_b64 s[2:3], vcc, s[2:3]
	s_waitcnt vmcnt(0)
	v_add_u32_e32 v44, s47, v0
	v_lshlrev_b32_e32 v0, 1, v43
	buffer_load_dwordx4 v[34:37], v0, s[20:23], 0 offen
	s_waitcnt vmcnt(0)
	v_cndmask_b32_e64 v0, 0, v37, s[2:3]
	buffer_store_dword v0, off, s[76:79], 0 offset:32 ; 4-byte Folded Spill
	v_cndmask_b32_e64 v0, 0, v36, s[2:3]
	buffer_store_dword v0, off, s[76:79], 0 offset:36 ; 4-byte Folded Spill
	;; [unrolled: 2-line block ×3, first 2 shown]
	buffer_load_dword v0, off, s[76:79], 0 offset:108 ; 4-byte Folded Reload
	v_cndmask_b32_e64 v25, 0, v34, s[2:3]
	s_waitcnt vmcnt(0)
	v_add_u32_e32 v35, s41, v0
	v_add_u32_e32 v0, v35, v31
	v_lshrrev_b32_e32 v30, s65, v0
	v_mul_hi_u32 v1, v30, s62
	v_mad_u64_u32 v[26:27], s[2:3], s45, v30, v[35:36]
	buffer_load_dword v0, off, s[76:79], 0 offset:100 ; 4-byte Folded Reload
	v_add_u32_e32 v1, v30, v1
	v_lshrrev_b32_e32 v1, s64, v1
	v_mul_lo_u32 v31, v1, s60
	v_sub_u32_e32 v34, v26, v38
	v_sub_u32_e32 v32, v1, v39
	v_mul_lo_u32 v37, v32, s56
	v_sub_u32_e32 v28, v30, v31
	v_sub_u32_e32 v31, v28, v40
	v_mul_lo_u32 v36, v31, s58
	v_mul_lo_u32 v34, v34, s19
	v_add_u32_e32 v32, v37, v42
	v_add_u32_e32 v31, v36, v41
	v_mul_lo_u32 v38, v36, s18
	v_mad_u64_u32 v[36:37], s[2:3], v37, s17, v[34:35]
	v_cmp_gt_i32_e64 s[2:3], s11, v35
	v_cmp_gt_i32_e64 s[8:9], s36, v31
	v_add3_u32 v34, v36, v43, v38
	v_lshlrev_b32_e32 v36, 1, v34
	buffer_load_dwordx4 v[38:41], v36, s[20:23], 0 offen
	v_cmp_le_i32_e64 s[6:7], s67, v31
	s_and_b64 s[2:3], s[8:9], s[2:3]
	s_and_b64 s[8:9], s[2:3], s[6:7]
	v_cmp_le_i32_e64 s[2:3], s66, v32
	v_cmp_gt_i32_e64 s[6:7], s28, v32
	s_and_b64 s[2:3], s[2:3], s[6:7]
	s_and_b64 s[2:3], s[2:3], s[8:9]
	s_and_b64 s[2:3], vcc, s[2:3]
	s_waitcnt vmcnt(0)
	v_cndmask_b32_e64 v37, 0, v39, s[2:3]
	v_add_u32_e32 v39, v0, v6
	v_cndmask_b32_e64 v35, 0, v41, s[2:3]
	v_cndmask_b32_e64 v36, 0, v40, s[2:3]
	;; [unrolled: 1-line block ×3, first 2 shown]
	v_cmp_gt_i32_e64 s[2:3], s68, v44
	buffer_load_dwordx4 v[42:45], v39, s[24:27], 0 offen
	buffer_load_dword v0, off, s[76:79], 0 offset:80 ; 4-byte Folded Reload
	s_and_b64 s[2:3], s[0:1], s[2:3]
	v_mov_b32_e32 v38, v6
	s_waitcnt vmcnt(1)
	v_cndmask_b32_e64 v41, 0, v43, s[2:3]
	s_waitcnt vmcnt(0)
	v_add_u32_e32 v43, s47, v0
	buffer_load_dword v0, off, s[76:79], 0 offset:96 ; 4-byte Folded Reload
	v_cndmask_b32_e64 v40, 0, v44, s[2:3]
	v_cndmask_b32_e64 v39, 0, v45, s[2:3]
	;; [unrolled: 1-line block ×3, first 2 shown]
	v_cmp_gt_i32_e64 s[2:3], s68, v43
	s_and_b64 s[2:3], s[0:1], s[2:3]
	s_waitcnt vmcnt(0)
	v_add_u32_e32 v44, v0, v6
	buffer_load_dwordx4 v[111:114], v44, s[24:27], 0 offen
	s_waitcnt vmcnt(0) lgkmcnt(0)
	s_barrier
	v_cndmask_b32_e64 v43, 0, v114, s[2:3]
	v_cndmask_b32_e64 v44, 0, v113, s[2:3]
	;; [unrolled: 1-line block ×4, first 2 shown]
	ds_read_b128 v[111:114], v4
	ds_read_b128 v[115:118], v5 offset:16384
	ds_read_b128 v[119:122], v5 offset:16640
	;; [unrolled: 1-line block ×3, first 2 shown]
	s_waitcnt lgkmcnt(2)
	v_dot2_f32_f16 v110, v111, v115, v110
	v_dot2_f32_f16 v109, v111, v116, v109
	;; [unrolled: 1-line block ×16, first 2 shown]
	s_waitcnt lgkmcnt(1)
	v_dot2_f32_f16 v102, v111, v119, v102
	v_dot2_f32_f16 v101, v111, v120, v101
	;; [unrolled: 1-line block ×16, first 2 shown]
	ds_read_b128 v[76:79], v4 offset:512
	s_waitcnt lgkmcnt(1)
	v_dot2_f32_f16 v71, v123, v115, v71
	v_dot2_f32_f16 v70, v123, v116, v70
	;; [unrolled: 1-line block ×15, first 2 shown]
	ds_read_b128 v[64:67], v5 offset:16896
	v_dot2_f32_f16 v63, v123, v119, v63
	v_dot2_f32_f16 v116, v123, v120, v61
	;; [unrolled: 1-line block ×12, first 2 shown]
	ds_read_b128 v[47:50], v5 offset:17152
	ds_read_b128 v[51:54], v4 offset:768
	v_dot2_f32_f16 v115, v126, v115, v33
	v_dot2_f32_f16 v72, v126, v119, v72
	;; [unrolled: 1-line block ×5, first 2 shown]
	s_waitcnt lgkmcnt(2)
	v_dot2_f32_f16 v110, v76, v64, v110
	v_dot2_f32_f16 v109, v76, v65, v109
	;; [unrolled: 1-line block ×16, first 2 shown]
	s_waitcnt lgkmcnt(1)
	v_dot2_f32_f16 v102, v76, v47, v102
	v_dot2_f32_f16 v101, v76, v48, v101
	;; [unrolled: 1-line block ×16, first 2 shown]
	ds_read_b128 v[55:58], v4 offset:1024
	s_waitcnt lgkmcnt(1)
	v_dot2_f32_f16 v71, v51, v64, v71
	v_dot2_f32_f16 v70, v51, v65, v70
	;; [unrolled: 1-line block ×16, first 2 shown]
	ds_read_b128 v[59:62], v5 offset:17408
	v_dot2_f32_f16 v63, v51, v47, v63
	v_dot2_f32_f16 v81, v51, v48, v116
	;; [unrolled: 1-line block ×16, first 2 shown]
	ds_read_b128 v[47:50], v5 offset:17664
	ds_read_b128 v[51:54], v4 offset:1280
	s_waitcnt lgkmcnt(2)
	v_dot2_f32_f16 v110, v55, v59, v110
	v_dot2_f32_f16 v109, v55, v60, v109
	;; [unrolled: 1-line block ×16, first 2 shown]
	s_waitcnt lgkmcnt(1)
	v_dot2_f32_f16 v102, v55, v47, v102
	v_dot2_f32_f16 v101, v55, v48, v101
	;; [unrolled: 1-line block ×16, first 2 shown]
	ds_read_b128 v[55:58], v4 offset:1536
	s_waitcnt lgkmcnt(1)
	v_dot2_f32_f16 v71, v51, v59, v71
	v_dot2_f32_f16 v70, v51, v60, v70
	;; [unrolled: 1-line block ×16, first 2 shown]
	ds_read_b128 v[59:62], v5 offset:17920
	v_dot2_f32_f16 v63, v51, v47, v63
	v_dot2_f32_f16 v81, v51, v48, v81
	;; [unrolled: 1-line block ×16, first 2 shown]
	ds_read_b128 v[47:50], v5 offset:18176
	ds_read_b128 v[51:54], v4 offset:1792
	s_waitcnt lgkmcnt(2)
	v_dot2_f32_f16 v110, v55, v59, v110
	v_dot2_f32_f16 v109, v55, v60, v109
	;; [unrolled: 1-line block ×16, first 2 shown]
	s_waitcnt lgkmcnt(1)
	v_dot2_f32_f16 v102, v55, v47, v102
	v_dot2_f32_f16 v101, v55, v48, v101
	;; [unrolled: 1-line block ×16, first 2 shown]
	ds_read_b128 v[55:58], v4 offset:2048
	s_waitcnt lgkmcnt(1)
	v_dot2_f32_f16 v71, v51, v59, v71
	v_dot2_f32_f16 v70, v51, v60, v70
	;; [unrolled: 1-line block ×16, first 2 shown]
	ds_read_b128 v[59:62], v5 offset:18432
	v_dot2_f32_f16 v63, v51, v47, v63
	v_dot2_f32_f16 v81, v51, v48, v81
	;; [unrolled: 1-line block ×16, first 2 shown]
	ds_read_b128 v[47:50], v5 offset:18688
	ds_read_b128 v[51:54], v4 offset:2304
	s_waitcnt lgkmcnt(2)
	v_dot2_f32_f16 v110, v55, v59, v110
	v_dot2_f32_f16 v109, v55, v60, v109
	;; [unrolled: 1-line block ×16, first 2 shown]
	s_waitcnt lgkmcnt(1)
	v_dot2_f32_f16 v102, v55, v47, v102
	v_dot2_f32_f16 v101, v55, v48, v101
	;; [unrolled: 1-line block ×16, first 2 shown]
	ds_read_b128 v[55:58], v4 offset:2560
	s_waitcnt lgkmcnt(1)
	v_dot2_f32_f16 v71, v51, v59, v71
	v_dot2_f32_f16 v70, v51, v60, v70
	;; [unrolled: 1-line block ×16, first 2 shown]
	ds_read_b128 v[59:62], v5 offset:18944
	v_dot2_f32_f16 v63, v51, v47, v63
	v_dot2_f32_f16 v81, v51, v48, v81
	;; [unrolled: 1-line block ×16, first 2 shown]
	ds_read_b128 v[47:50], v5 offset:19200
	ds_read_b128 v[51:54], v4 offset:2816
	s_waitcnt lgkmcnt(2)
	v_dot2_f32_f16 v110, v55, v59, v110
	v_dot2_f32_f16 v109, v55, v60, v109
	;; [unrolled: 1-line block ×16, first 2 shown]
	s_waitcnt lgkmcnt(1)
	v_dot2_f32_f16 v102, v55, v47, v102
	v_dot2_f32_f16 v101, v55, v48, v101
	;; [unrolled: 1-line block ×16, first 2 shown]
	ds_read_b128 v[55:58], v4 offset:3072
	s_waitcnt lgkmcnt(1)
	v_dot2_f32_f16 v71, v51, v59, v71
	v_dot2_f32_f16 v70, v51, v60, v70
	;; [unrolled: 1-line block ×16, first 2 shown]
	ds_read_b128 v[59:62], v5 offset:19456
	v_dot2_f32_f16 v63, v51, v47, v63
	v_dot2_f32_f16 v81, v51, v48, v81
	;; [unrolled: 1-line block ×16, first 2 shown]
	ds_read_b128 v[47:50], v5 offset:19712
	ds_read_b128 v[51:54], v4 offset:3328
	s_waitcnt lgkmcnt(2)
	v_dot2_f32_f16 v110, v55, v59, v110
	v_dot2_f32_f16 v109, v55, v60, v109
	;; [unrolled: 1-line block ×16, first 2 shown]
	s_waitcnt lgkmcnt(1)
	v_dot2_f32_f16 v102, v55, v47, v102
	v_dot2_f32_f16 v101, v55, v48, v101
	;; [unrolled: 1-line block ×16, first 2 shown]
	ds_read_b128 v[55:58], v4 offset:3584
	s_waitcnt lgkmcnt(1)
	v_dot2_f32_f16 v71, v51, v59, v71
	v_dot2_f32_f16 v70, v51, v60, v70
	;; [unrolled: 1-line block ×16, first 2 shown]
	ds_read_b128 v[59:62], v5 offset:19968
	v_dot2_f32_f16 v63, v51, v47, v63
	v_dot2_f32_f16 v81, v51, v48, v81
	;; [unrolled: 1-line block ×16, first 2 shown]
	ds_read_b128 v[47:50], v5 offset:20224
	ds_read_b128 v[51:54], v4 offset:3840
	s_waitcnt lgkmcnt(2)
	v_dot2_f32_f16 v110, v55, v59, v110
	v_dot2_f32_f16 v109, v55, v60, v109
	v_dot2_f32_f16 v108, v55, v61, v108
	v_dot2_f32_f16 v107, v55, v62, v107
	v_dot2_f32_f16 v106, v56, v59, v106
	v_dot2_f32_f16 v105, v56, v60, v105
	v_dot2_f32_f16 v104, v56, v61, v104
	v_dot2_f32_f16 v103, v56, v62, v103
	v_dot2_f32_f16 v100, v57, v59, v100
	v_dot2_f32_f16 v98, v57, v60, v98
	v_dot2_f32_f16 v96, v57, v61, v96
	v_dot2_f32_f16 v95, v57, v62, v95
	v_dot2_f32_f16 v92, v58, v59, v92
	v_dot2_f32_f16 v90, v58, v60, v90
	v_dot2_f32_f16 v88, v58, v61, v88
	v_dot2_f32_f16 v87, v58, v62, v87
	s_waitcnt lgkmcnt(1)
	v_dot2_f32_f16 v102, v55, v47, v102
	v_dot2_f32_f16 v101, v55, v48, v101
	;; [unrolled: 1-line block ×16, first 2 shown]
	ds_read_b128 v[55:58], v4 offset:4096
	s_waitcnt lgkmcnt(1)
	v_dot2_f32_f16 v71, v51, v59, v71
	v_dot2_f32_f16 v70, v51, v60, v70
	;; [unrolled: 1-line block ×16, first 2 shown]
	ds_read_b128 v[59:62], v5 offset:20480
	v_dot2_f32_f16 v63, v51, v47, v63
	v_dot2_f32_f16 v81, v51, v48, v81
	;; [unrolled: 1-line block ×16, first 2 shown]
	ds_read_b128 v[47:50], v5 offset:20736
	ds_read_b128 v[51:54], v4 offset:4352
	s_waitcnt lgkmcnt(2)
	v_dot2_f32_f16 v110, v55, v59, v110
	v_dot2_f32_f16 v109, v55, v60, v109
	;; [unrolled: 1-line block ×16, first 2 shown]
	s_waitcnt lgkmcnt(1)
	v_dot2_f32_f16 v102, v55, v47, v102
	v_dot2_f32_f16 v101, v55, v48, v101
	v_dot2_f32_f16 v99, v55, v49, v99
	v_dot2_f32_f16 v76, v55, v50, v76
	v_dot2_f32_f16 v94, v56, v47, v94
	v_dot2_f32_f16 v93, v56, v48, v93
	v_dot2_f32_f16 v91, v56, v49, v91
	v_dot2_f32_f16 v77, v56, v50, v77
	v_dot2_f32_f16 v86, v57, v47, v86
	v_dot2_f32_f16 v85, v57, v48, v85
	v_dot2_f32_f16 v84, v57, v49, v84
	v_dot2_f32_f16 v78, v57, v50, v78
	v_dot2_f32_f16 v80, v58, v47, v80
	v_dot2_f32_f16 v89, v58, v48, v89
	v_dot2_f32_f16 v97, v58, v49, v97
	v_dot2_f32_f16 v79, v58, v50, v79
	ds_read_b128 v[55:58], v4 offset:4608
	s_waitcnt lgkmcnt(1)
	v_dot2_f32_f16 v71, v51, v59, v71
	v_dot2_f32_f16 v70, v51, v60, v70
	;; [unrolled: 1-line block ×16, first 2 shown]
	ds_read_b128 v[59:62], v5 offset:20992
	v_dot2_f32_f16 v63, v51, v47, v63
	v_dot2_f32_f16 v81, v51, v48, v81
	;; [unrolled: 1-line block ×16, first 2 shown]
	ds_read_b128 v[47:50], v5 offset:21248
	ds_read_b128 v[51:54], v4 offset:4864
	s_waitcnt lgkmcnt(2)
	v_dot2_f32_f16 v110, v55, v59, v110
	v_dot2_f32_f16 v109, v55, v60, v109
	;; [unrolled: 1-line block ×16, first 2 shown]
	s_waitcnt lgkmcnt(1)
	v_dot2_f32_f16 v102, v55, v47, v102
	v_dot2_f32_f16 v101, v55, v48, v101
	;; [unrolled: 1-line block ×16, first 2 shown]
	ds_read_b128 v[55:58], v4 offset:5120
	s_waitcnt lgkmcnt(1)
	v_dot2_f32_f16 v71, v51, v59, v71
	v_dot2_f32_f16 v70, v51, v60, v70
	;; [unrolled: 1-line block ×16, first 2 shown]
	ds_read_b128 v[59:62], v5 offset:21504
	v_dot2_f32_f16 v63, v51, v47, v63
	v_dot2_f32_f16 v81, v51, v48, v81
	v_dot2_f32_f16 v82, v51, v49, v82
	v_dot2_f32_f16 v83, v51, v50, v83
	v_dot2_f32_f16 v114, v52, v47, v114
	v_dot2_f32_f16 v16, v52, v48, v16
	v_dot2_f32_f16 v8, v52, v49, v8
	v_dot2_f32_f16 v115, v52, v50, v115
	v_dot2_f32_f16 v9, v53, v47, v9
	v_dot2_f32_f16 v10, v53, v48, v10
	v_dot2_f32_f16 v11, v53, v49, v11
	v_dot2_f32_f16 v116, v53, v50, v116
	v_dot2_f32_f16 v72, v54, v47, v72
	v_dot2_f32_f16 v73, v54, v48, v73
	v_dot2_f32_f16 v74, v54, v49, v74
	v_dot2_f32_f16 v75, v54, v50, v75
	ds_read_b128 v[47:50], v5 offset:21760
	ds_read_b128 v[51:54], v4 offset:5376
	s_waitcnt lgkmcnt(2)
	v_dot2_f32_f16 v110, v55, v59, v110
	v_dot2_f32_f16 v109, v55, v60, v109
	;; [unrolled: 1-line block ×16, first 2 shown]
	s_waitcnt lgkmcnt(1)
	v_dot2_f32_f16 v102, v55, v47, v102
	v_dot2_f32_f16 v101, v55, v48, v101
	;; [unrolled: 1-line block ×16, first 2 shown]
	ds_read_b128 v[55:58], v4 offset:5632
	s_waitcnt lgkmcnt(1)
	v_dot2_f32_f16 v71, v51, v59, v71
	v_dot2_f32_f16 v70, v51, v60, v70
	;; [unrolled: 1-line block ×16, first 2 shown]
	ds_read_b128 v[59:62], v5 offset:22016
	v_dot2_f32_f16 v63, v51, v47, v63
	v_dot2_f32_f16 v81, v51, v48, v81
	;; [unrolled: 1-line block ×16, first 2 shown]
	ds_read_b128 v[47:50], v5 offset:22272
	ds_read_b128 v[51:54], v4 offset:5888
	s_waitcnt lgkmcnt(2)
	v_dot2_f32_f16 v110, v55, v59, v110
	v_dot2_f32_f16 v109, v55, v60, v109
	;; [unrolled: 1-line block ×16, first 2 shown]
	s_waitcnt lgkmcnt(1)
	v_dot2_f32_f16 v102, v55, v47, v102
	v_dot2_f32_f16 v101, v55, v48, v101
	;; [unrolled: 1-line block ×16, first 2 shown]
	ds_read_b128 v[55:58], v4 offset:6144
	s_waitcnt lgkmcnt(1)
	v_dot2_f32_f16 v71, v51, v59, v71
	v_dot2_f32_f16 v70, v51, v60, v70
	;; [unrolled: 1-line block ×16, first 2 shown]
	ds_read_b128 v[59:62], v5 offset:22528
	v_dot2_f32_f16 v63, v51, v47, v63
	v_dot2_f32_f16 v81, v51, v48, v81
	;; [unrolled: 1-line block ×16, first 2 shown]
	ds_read_b128 v[47:50], v5 offset:22784
	ds_read_b128 v[51:54], v4 offset:6400
	s_waitcnt lgkmcnt(2)
	v_dot2_f32_f16 v110, v55, v59, v110
	v_dot2_f32_f16 v109, v55, v60, v109
	v_dot2_f32_f16 v108, v55, v61, v108
	v_dot2_f32_f16 v107, v55, v62, v107
	v_dot2_f32_f16 v106, v56, v59, v106
	v_dot2_f32_f16 v105, v56, v60, v105
	v_dot2_f32_f16 v104, v56, v61, v104
	v_dot2_f32_f16 v103, v56, v62, v103
	v_dot2_f32_f16 v100, v57, v59, v100
	v_dot2_f32_f16 v98, v57, v60, v98
	v_dot2_f32_f16 v96, v57, v61, v96
	v_dot2_f32_f16 v95, v57, v62, v95
	v_dot2_f32_f16 v92, v58, v59, v92
	v_dot2_f32_f16 v90, v58, v60, v90
	v_dot2_f32_f16 v88, v58, v61, v88
	v_dot2_f32_f16 v87, v58, v62, v87
	s_waitcnt lgkmcnt(1)
	v_dot2_f32_f16 v102, v55, v47, v102
	v_dot2_f32_f16 v101, v55, v48, v101
	;; [unrolled: 1-line block ×16, first 2 shown]
	ds_read_b128 v[55:58], v4 offset:6656
	s_waitcnt lgkmcnt(1)
	v_dot2_f32_f16 v71, v51, v59, v71
	v_dot2_f32_f16 v70, v51, v60, v70
	;; [unrolled: 1-line block ×16, first 2 shown]
	ds_read_b128 v[59:62], v5 offset:23040
	v_dot2_f32_f16 v63, v51, v47, v63
	v_dot2_f32_f16 v81, v51, v48, v81
	;; [unrolled: 1-line block ×16, first 2 shown]
	ds_read_b128 v[47:50], v5 offset:23296
	ds_read_b128 v[51:54], v4 offset:6912
	s_waitcnt lgkmcnt(2)
	v_dot2_f32_f16 v110, v55, v59, v110
	v_dot2_f32_f16 v109, v55, v60, v109
	;; [unrolled: 1-line block ×16, first 2 shown]
	s_waitcnt lgkmcnt(1)
	v_dot2_f32_f16 v102, v55, v47, v102
	v_dot2_f32_f16 v101, v55, v48, v101
	;; [unrolled: 1-line block ×16, first 2 shown]
	ds_read_b128 v[55:58], v4 offset:7168
	s_waitcnt lgkmcnt(1)
	v_dot2_f32_f16 v71, v51, v59, v71
	v_dot2_f32_f16 v70, v51, v60, v70
	;; [unrolled: 1-line block ×16, first 2 shown]
	ds_read_b128 v[59:62], v5 offset:23552
	v_dot2_f32_f16 v63, v51, v47, v63
	v_dot2_f32_f16 v81, v51, v48, v81
	;; [unrolled: 1-line block ×16, first 2 shown]
	ds_read_b128 v[47:50], v5 offset:23808
	ds_read_b128 v[51:54], v4 offset:7424
	s_waitcnt lgkmcnt(2)
	v_dot2_f32_f16 v110, v55, v59, v110
	v_dot2_f32_f16 v109, v55, v60, v109
	;; [unrolled: 1-line block ×16, first 2 shown]
	s_waitcnt lgkmcnt(1)
	v_dot2_f32_f16 v102, v55, v47, v102
	v_dot2_f32_f16 v101, v55, v48, v101
	;; [unrolled: 1-line block ×16, first 2 shown]
	ds_read_b128 v[55:58], v4 offset:7680
	s_waitcnt lgkmcnt(1)
	v_dot2_f32_f16 v71, v51, v59, v71
	v_dot2_f32_f16 v70, v51, v60, v70
	;; [unrolled: 1-line block ×16, first 2 shown]
	ds_read_b128 v[59:62], v5 offset:24064
	v_dot2_f32_f16 v64, v52, v47, v114
	v_dot2_f32_f16 v16, v52, v48, v16
	;; [unrolled: 1-line block ×8, first 2 shown]
	ds_read_b128 v[111:114], v5 offset:24320
	ds_read_b128 v[115:118], v4 offset:7936
	v_dot2_f32_f16 v27, v51, v47, v63
	v_dot2_f32_f16 v13, v51, v48, v81
	v_dot2_f32_f16 v63, v51, v49, v82
	v_dot2_f32_f16 v51, v51, v50, v83
	s_waitcnt lgkmcnt(2)
	v_dot2_f32_f16 v83, v56, v59, v106
	s_waitcnt lgkmcnt(1)
	v_dot2_f32_f16 v106, v57, v114, v78
	;; [unrolled: 2-line block ×3, first 2 shown]
	buffer_load_dword v0, off, s[76:79], 0 offset:40 ; 4-byte Folded Reload
	v_dot2_f32_f16 v66, v115, v62, v68
	v_dot2_f32_f16 v68, v116, v60, v2
	;; [unrolled: 1-line block ×65, first 2 shown]
	s_waitcnt vmcnt(0)
	ds_write2st64_b32 v7, v25, v0 offset0:32 offset1:34
	buffer_load_dword v0, off, s[76:79], 0 offset:32 ; 4-byte Folded Reload
	buffer_load_dword v2, off, s[76:79], 0 offset:36 ; 4-byte Folded Reload
	s_waitcnt vmcnt(0)
	ds_write2st64_b32 v7, v2, v0 offset0:36 offset1:38
	ds_write2st64_b32 v7, v30, v37 offset0:40 offset1:42
	;; [unrolled: 1-line block ×7, first 2 shown]
	buffer_load_dword v0, off, s[76:79], 0 offset:116 ; 4-byte Folded Reload
	s_waitcnt vmcnt(0)
	v_add_u32_e32 v25, s41, v0
	buffer_load_dword v0, off, s[76:79], 0 offset:28 ; 4-byte Folded Reload
	s_waitcnt vmcnt(0)
	v_add_u32_e32 v0, v25, v0
	v_lshrrev_b32_e32 v0, s65, v0
	v_mul_hi_u32 v8, v0, s62
	v_mad_u64_u32 v[35:36], s[2:3], s45, v0, v[25:26]
	v_add_u32_e32 v8, v0, v8
	v_lshrrev_b32_e32 v8, s64, v8
	v_mul_lo_u32 v9, v8, s60
	v_sub_u32_e32 v2, v35, v26
	v_sub_u32_e32 v1, v8, v1
	v_mul_lo_u32 v1, v1, s56
	v_sub_u32_e32 v9, v0, v9
	v_sub_u32_e32 v0, v9, v28
	v_mul_lo_u32 v0, v0, s58
	v_add_u32_e32 v11, v1, v32
	v_add_u32_e32 v10, v0, v31
	v_mul_lo_u32 v16, v0, s18
	v_mul_lo_u32 v0, v2, s19
	v_cmp_gt_i32_e64 s[8:9], s36, v10
	v_cmp_le_i32_e64 s[6:7], s67, v10
	v_mad_u64_u32 v[0:1], s[2:3], v1, s17, v[0:1]
	v_cmp_gt_i32_e64 s[2:3], s11, v25
	s_and_b64 s[2:3], s[8:9], s[2:3]
	v_add3_u32 v16, v0, v16, v34
	buffer_load_dword v0, off, s[76:79], 0 offset:76 ; 4-byte Folded Reload
	s_and_b64 s[8:9], s[2:3], s[6:7]
	v_cmp_le_i32_e64 s[2:3], s66, v11
	v_cmp_gt_i32_e64 s[6:7], s28, v11
	s_and_b64 s[2:3], s[2:3], s[6:7]
	s_and_b64 s[2:3], s[2:3], s[8:9]
	s_and_b64 s[2:3], vcc, s[2:3]
	buffer_load_dword v1, off, s[76:79], 0  ; 4-byte Folded Reload
	s_waitcnt vmcnt(1)
	v_add_u32_e32 v19, s47, v0
	v_lshlrev_b32_e32 v0, 1, v16
	buffer_load_dwordx4 v[25:28], v0, s[20:23], 0 offen
	s_waitcnt vmcnt(0)
	v_cndmask_b32_e64 v0, 0, v28, s[2:3]
	buffer_store_dword v0, off, s[76:79], 0 offset:28 ; 4-byte Folded Spill
	v_cndmask_b32_e64 v0, 0, v27, s[2:3]
	buffer_store_dword v0, off, s[76:79], 0 offset:32 ; 4-byte Folded Spill
	;; [unrolled: 2-line block ×4, first 2 shown]
	buffer_load_dword v0, off, s[76:79], 0 offset:112 ; 4-byte Folded Reload
	s_add_i32 s2, s46, s46
	s_waitcnt vmcnt(0)
	v_add_u32_e32 v34, s41, v0
	buffer_load_dword v0, off, s[76:79], 0 offset:20 ; 4-byte Folded Reload
	v_add_u32_e32 v1, s2, v1
	buffer_store_dword v1, off, s[76:79], 0 ; 4-byte Folded Spill
	s_add_i32 s41, s41, s44
	s_waitcnt vmcnt(1)
	v_add_u32_e32 v0, v34, v0
	v_lshrrev_b32_e32 v20, s65, v0
	v_mul_lo_u32 v0, v20, s61
	v_sub_u32_e32 v0, v1, v0
	buffer_store_dword v0, off, s[76:79], 0 offset:60 ; 4-byte Folded Spill
	v_mad_u64_u32 v[0:1], s[2:3], s45, v20, v[34:35]
	v_sub_u32_e32 v1, v0, v35
	v_mul_hi_u32 v0, v20, s62
	v_mul_lo_u32 v1, v1, s19
	v_add_u32_e32 v0, v20, v0
	v_lshrrev_b32_e32 v31, s64, v0
	v_mul_lo_u32 v0, v31, s60
	v_sub_u32_e32 v8, v31, v8
	v_mul_lo_u32 v8, v8, s56
	v_sub_u32_e32 v0, v20, v0
	buffer_store_dword v0, off, s[76:79], 0 offset:68 ; 4-byte Folded Spill
	v_sub_u32_e32 v0, v0, v9
	v_mul_lo_u32 v9, v0, s58
	v_mad_u64_u32 v[35:36], s[2:3], v8, s17, v[1:2]
	v_add_u32_e32 v32, v8, v11
	v_add_u32_e32 v30, v9, v10
	v_mul_lo_u32 v9, v9, s18
	v_cmp_gt_i32_e64 s[2:3], s11, v34
	v_cmp_gt_i32_e64 s[8:9], s36, v30
	v_cmp_le_i32_e64 s[6:7], s67, v30
	v_add3_u32 v0, v35, v9, v16
	buffer_store_dword v0, off, s[76:79], 0 offset:20 ; 4-byte Folded Spill
	s_nop 0
	buffer_store_dword v1, off, s[76:79], 0 offset:24 ; 4-byte Folded Spill
	s_and_b64 s[2:3], s[8:9], s[2:3]
	s_and_b64 s[8:9], s[2:3], s[6:7]
	v_cmp_le_i32_e64 s[2:3], s66, v32
	v_cmp_gt_i32_e64 s[6:7], s28, v32
	s_and_b64 s[2:3], s[2:3], s[6:7]
	s_and_b64 s[2:3], s[2:3], s[8:9]
	s_and_b64 s[2:3], vcc, s[2:3]
	v_lshlrev_b32_e32 v8, 1, v0
	buffer_load_dwordx4 v[33:36], v8, s[20:23], 0 offen
	s_waitcnt vmcnt(0)
	v_cndmask_b32_e64 v0, 0, v36, s[2:3]
	buffer_store_dword v0, off, s[76:79], 0 offset:64 ; 4-byte Folded Spill
	buffer_load_dword v0, off, s[76:79], 0 offset:92 ; 4-byte Folded Reload
	v_cndmask_b32_e64 v36, 0, v35, s[2:3]
	v_cndmask_b32_e64 v35, 0, v34, s[2:3]
	;; [unrolled: 1-line block ×3, first 2 shown]
	v_cmp_gt_i32_e64 s[2:3], s68, v19
	s_and_b64 s[2:3], s[0:1], s[2:3]
	s_waitcnt vmcnt(0)
	v_add_u32_e32 v8, v0, v38
	buffer_load_dwordx4 v[41:44], v8, s[24:27], 0 offen
	s_waitcnt vmcnt(0)
	v_cndmask_b32_e64 v0, 0, v44, s[2:3]
	buffer_store_dword v0, off, s[76:79], 0 offset:44 ; 4-byte Folded Spill
	v_cndmask_b32_e64 v0, 0, v43, s[2:3]
	buffer_store_dword v0, off, s[76:79], 0 offset:48 ; 4-byte Folded Spill
	;; [unrolled: 2-line block ×4, first 2 shown]
	buffer_load_dword v0, off, s[76:79], 0 offset:72 ; 4-byte Folded Reload
	s_waitcnt vmcnt(0)
	v_add_u32_e32 v8, s47, v0
	buffer_load_dword v0, off, s[76:79], 0 offset:88 ; 4-byte Folded Reload
	v_cmp_gt_i32_e64 s[2:3], s68, v8
	s_and_b64 s[2:3], s[0:1], s[2:3]
	s_add_i32 s47, s47, s30
	s_cmp_lt_i32 s48, s10
	s_waitcnt vmcnt(0)
	v_add_u32_e32 v9, v0, v38
	buffer_load_dwordx4 v[111:114], v9, s[24:27], 0 offen
	s_waitcnt vmcnt(0) lgkmcnt(0)
	s_barrier
	v_cndmask_b32_e64 v41, 0, v114, s[2:3]
	v_cndmask_b32_e64 v42, 0, v113, s[2:3]
	;; [unrolled: 1-line block ×4, first 2 shown]
	ds_read_b128 v[111:114], v4 offset:8192
	ds_read_b128 v[115:118], v5 offset:24576
	ds_read_b128 v[119:122], v5 offset:24832
	ds_read_b128 v[123:126], v4 offset:8448
	s_waitcnt lgkmcnt(2)
	v_dot2_f32_f16 v8, v111, v115, v79
	v_dot2_f32_f16 v9, v111, v116, v80
	;; [unrolled: 1-line block ×9, first 2 shown]
	s_waitcnt lgkmcnt(1)
	v_dot2_f32_f16 v86, v111, v119, v95
	v_dot2_f32_f16 v93, v112, v122, v102
	;; [unrolled: 1-line block ×4, first 2 shown]
	ds_read_b128 v[79:82], v4 offset:8704
	s_waitcnt lgkmcnt(1)
	v_dot2_f32_f16 v102, v123, v117, v65
	v_dot2_f32_f16 v103, v123, v118, v66
	ds_read_b128 v[63:66], v5 offset:25088
	v_dot2_f32_f16 v104, v124, v119, v51
	ds_read_b128 v[45:48], v5 offset:25344
	ds_read_b128 v[49:52], v4 offset:8960
	v_dot2_f32_f16 v16, v112, v115, v83
	v_dot2_f32_f16 v22, v113, v115, v87
	;; [unrolled: 1-line block ×48, first 2 shown]
	s_waitcnt lgkmcnt(2)
	v_dot2_f32_f16 v8, v79, v63, v8
	v_dot2_f32_f16 v9, v79, v64, v9
	;; [unrolled: 1-line block ×16, first 2 shown]
	s_waitcnt lgkmcnt(1)
	v_dot2_f32_f16 v86, v79, v45, v86
	v_dot2_f32_f16 v87, v79, v46, v87
	;; [unrolled: 1-line block ×16, first 2 shown]
	ds_read_b128 v[53:56], v4 offset:9216
	ds_read_b128 v[57:60], v5 offset:25600
	s_waitcnt lgkmcnt(2)
	v_dot2_f32_f16 v17, v49, v63, v17
	v_dot2_f32_f16 v18, v49, v64, v18
	;; [unrolled: 1-line block ×32, first 2 shown]
	ds_read_b128 v[45:48], v5 offset:25856
	ds_read_b128 v[49:52], v4 offset:9472
	s_waitcnt lgkmcnt(2)
	v_dot2_f32_f16 v8, v53, v57, v8
	v_dot2_f32_f16 v9, v53, v58, v9
	;; [unrolled: 1-line block ×16, first 2 shown]
	s_waitcnt lgkmcnt(1)
	v_dot2_f32_f16 v86, v53, v45, v86
	v_dot2_f32_f16 v87, v53, v46, v87
	;; [unrolled: 1-line block ×16, first 2 shown]
	ds_read_b128 v[53:56], v4 offset:9728
	s_waitcnt lgkmcnt(1)
	v_dot2_f32_f16 v17, v49, v57, v17
	v_dot2_f32_f16 v18, v49, v58, v18
	;; [unrolled: 1-line block ×16, first 2 shown]
	ds_read_b128 v[57:60], v5 offset:26112
	v_dot2_f32_f16 v12, v49, v45, v12
	v_dot2_f32_f16 v13, v49, v46, v13
	;; [unrolled: 1-line block ×16, first 2 shown]
	ds_read_b128 v[45:48], v5 offset:26368
	ds_read_b128 v[49:52], v4 offset:9984
	s_waitcnt lgkmcnt(2)
	v_dot2_f32_f16 v8, v53, v57, v8
	v_dot2_f32_f16 v9, v53, v58, v9
	;; [unrolled: 1-line block ×16, first 2 shown]
	s_waitcnt lgkmcnt(1)
	v_dot2_f32_f16 v86, v53, v45, v86
	v_dot2_f32_f16 v87, v53, v46, v87
	;; [unrolled: 1-line block ×16, first 2 shown]
	ds_read_b128 v[53:56], v4 offset:10240
	s_waitcnt lgkmcnt(1)
	v_dot2_f32_f16 v17, v49, v57, v17
	v_dot2_f32_f16 v18, v49, v58, v18
	;; [unrolled: 1-line block ×16, first 2 shown]
	ds_read_b128 v[57:60], v5 offset:26624
	v_dot2_f32_f16 v12, v49, v45, v12
	v_dot2_f32_f16 v13, v49, v46, v13
	;; [unrolled: 1-line block ×16, first 2 shown]
	ds_read_b128 v[45:48], v5 offset:26880
	ds_read_b128 v[49:52], v4 offset:10496
	s_waitcnt lgkmcnt(2)
	v_dot2_f32_f16 v8, v53, v57, v8
	v_dot2_f32_f16 v9, v53, v58, v9
	;; [unrolled: 1-line block ×16, first 2 shown]
	s_waitcnt lgkmcnt(1)
	v_dot2_f32_f16 v86, v53, v45, v86
	v_dot2_f32_f16 v87, v53, v46, v87
	;; [unrolled: 1-line block ×16, first 2 shown]
	ds_read_b128 v[53:56], v4 offset:10752
	s_waitcnt lgkmcnt(1)
	v_dot2_f32_f16 v17, v49, v57, v17
	v_dot2_f32_f16 v18, v49, v58, v18
	;; [unrolled: 1-line block ×16, first 2 shown]
	ds_read_b128 v[57:60], v5 offset:27136
	v_dot2_f32_f16 v12, v49, v45, v12
	v_dot2_f32_f16 v13, v49, v46, v13
	;; [unrolled: 1-line block ×16, first 2 shown]
	ds_read_b128 v[45:48], v5 offset:27392
	ds_read_b128 v[49:52], v4 offset:11008
	s_waitcnt lgkmcnt(2)
	v_dot2_f32_f16 v8, v53, v57, v8
	v_dot2_f32_f16 v9, v53, v58, v9
	;; [unrolled: 1-line block ×16, first 2 shown]
	s_waitcnt lgkmcnt(1)
	v_dot2_f32_f16 v86, v53, v45, v86
	v_dot2_f32_f16 v87, v53, v46, v87
	;; [unrolled: 1-line block ×16, first 2 shown]
	ds_read_b128 v[53:56], v4 offset:11264
	s_waitcnt lgkmcnt(1)
	v_dot2_f32_f16 v17, v49, v57, v17
	v_dot2_f32_f16 v18, v49, v58, v18
	;; [unrolled: 1-line block ×16, first 2 shown]
	ds_read_b128 v[57:60], v5 offset:27648
	v_dot2_f32_f16 v12, v49, v45, v12
	v_dot2_f32_f16 v13, v49, v46, v13
	;; [unrolled: 1-line block ×16, first 2 shown]
	ds_read_b128 v[45:48], v5 offset:27904
	ds_read_b128 v[49:52], v4 offset:11520
	s_waitcnt lgkmcnt(2)
	v_dot2_f32_f16 v8, v53, v57, v8
	v_dot2_f32_f16 v9, v53, v58, v9
	;; [unrolled: 1-line block ×16, first 2 shown]
	s_waitcnt lgkmcnt(1)
	v_dot2_f32_f16 v86, v53, v45, v86
	v_dot2_f32_f16 v87, v53, v46, v87
	;; [unrolled: 1-line block ×16, first 2 shown]
	ds_read_b128 v[53:56], v4 offset:11776
	s_waitcnt lgkmcnt(1)
	v_dot2_f32_f16 v17, v49, v57, v17
	v_dot2_f32_f16 v18, v49, v58, v18
	v_dot2_f32_f16 v98, v49, v59, v98
	v_dot2_f32_f16 v99, v49, v60, v99
	v_dot2_f32_f16 v67, v50, v57, v67
	v_dot2_f32_f16 v68, v50, v58, v68
	v_dot2_f32_f16 v69, v50, v59, v69
	v_dot2_f32_f16 v70, v50, v60, v70
	v_dot2_f32_f16 v71, v51, v57, v71
	v_dot2_f32_f16 v72, v51, v58, v72
	v_dot2_f32_f16 v73, v51, v59, v73
	v_dot2_f32_f16 v74, v51, v60, v74
	v_dot2_f32_f16 v63, v52, v57, v63
	v_dot2_f32_f16 v64, v52, v58, v64
	v_dot2_f32_f16 v65, v52, v59, v65
	v_dot2_f32_f16 v66, v52, v60, v66
	ds_read_b128 v[57:60], v5 offset:28160
	v_dot2_f32_f16 v12, v49, v45, v12
	v_dot2_f32_f16 v13, v49, v46, v13
	;; [unrolled: 1-line block ×16, first 2 shown]
	ds_read_b128 v[45:48], v5 offset:28416
	ds_read_b128 v[49:52], v4 offset:12032
	s_waitcnt lgkmcnt(2)
	v_dot2_f32_f16 v8, v53, v57, v8
	v_dot2_f32_f16 v9, v53, v58, v9
	;; [unrolled: 1-line block ×16, first 2 shown]
	s_waitcnt lgkmcnt(1)
	v_dot2_f32_f16 v86, v53, v45, v86
	v_dot2_f32_f16 v87, v53, v46, v87
	;; [unrolled: 1-line block ×16, first 2 shown]
	ds_read_b128 v[53:56], v4 offset:12288
	s_waitcnt lgkmcnt(1)
	v_dot2_f32_f16 v17, v49, v57, v17
	v_dot2_f32_f16 v18, v49, v58, v18
	;; [unrolled: 1-line block ×16, first 2 shown]
	ds_read_b128 v[57:60], v5 offset:28672
	v_dot2_f32_f16 v12, v49, v45, v12
	v_dot2_f32_f16 v13, v49, v46, v13
	;; [unrolled: 1-line block ×16, first 2 shown]
	ds_read_b128 v[45:48], v5 offset:28928
	ds_read_b128 v[49:52], v4 offset:12544
	s_waitcnt lgkmcnt(2)
	v_dot2_f32_f16 v8, v53, v57, v8
	v_dot2_f32_f16 v9, v53, v58, v9
	v_dot2_f32_f16 v10, v53, v59, v10
	v_dot2_f32_f16 v11, v53, v60, v11
	v_dot2_f32_f16 v16, v54, v57, v16
	v_dot2_f32_f16 v19, v54, v58, v19
	v_dot2_f32_f16 v20, v54, v59, v20
	v_dot2_f32_f16 v21, v54, v60, v21
	v_dot2_f32_f16 v22, v55, v57, v22
	v_dot2_f32_f16 v23, v55, v58, v23
	v_dot2_f32_f16 v24, v55, v59, v24
	v_dot2_f32_f16 v29, v55, v60, v29
	v_dot2_f32_f16 v104, v56, v57, v104
	v_dot2_f32_f16 v83, v56, v58, v83
	v_dot2_f32_f16 v84, v56, v59, v84
	v_dot2_f32_f16 v85, v56, v60, v85
	s_waitcnt lgkmcnt(1)
	v_dot2_f32_f16 v86, v53, v45, v86
	v_dot2_f32_f16 v87, v53, v46, v87
	;; [unrolled: 1-line block ×16, first 2 shown]
	ds_read_b128 v[53:56], v4 offset:12800
	s_waitcnt lgkmcnt(1)
	v_dot2_f32_f16 v17, v49, v57, v17
	v_dot2_f32_f16 v18, v49, v58, v18
	;; [unrolled: 1-line block ×16, first 2 shown]
	ds_read_b128 v[57:60], v5 offset:29184
	v_dot2_f32_f16 v12, v49, v45, v12
	v_dot2_f32_f16 v13, v49, v46, v13
	;; [unrolled: 1-line block ×16, first 2 shown]
	ds_read_b128 v[45:48], v5 offset:29440
	ds_read_b128 v[49:52], v4 offset:13056
	s_waitcnt lgkmcnt(2)
	v_dot2_f32_f16 v8, v53, v57, v8
	v_dot2_f32_f16 v9, v53, v58, v9
	;; [unrolled: 1-line block ×16, first 2 shown]
	s_waitcnt lgkmcnt(1)
	v_dot2_f32_f16 v86, v53, v45, v86
	v_dot2_f32_f16 v87, v53, v46, v87
	;; [unrolled: 1-line block ×16, first 2 shown]
	ds_read_b128 v[53:56], v4 offset:13312
	s_waitcnt lgkmcnt(1)
	v_dot2_f32_f16 v17, v49, v57, v17
	v_dot2_f32_f16 v18, v49, v58, v18
	;; [unrolled: 1-line block ×16, first 2 shown]
	ds_read_b128 v[57:60], v5 offset:29696
	v_dot2_f32_f16 v12, v49, v45, v12
	v_dot2_f32_f16 v13, v49, v46, v13
	;; [unrolled: 1-line block ×16, first 2 shown]
	ds_read_b128 v[45:48], v5 offset:29952
	ds_read_b128 v[49:52], v4 offset:13568
	s_waitcnt lgkmcnt(2)
	v_dot2_f32_f16 v8, v53, v57, v8
	v_dot2_f32_f16 v9, v53, v58, v9
	;; [unrolled: 1-line block ×16, first 2 shown]
	s_waitcnt lgkmcnt(1)
	v_dot2_f32_f16 v86, v53, v45, v86
	v_dot2_f32_f16 v87, v53, v46, v87
	;; [unrolled: 1-line block ×16, first 2 shown]
	ds_read_b128 v[53:56], v4 offset:13824
	s_waitcnt lgkmcnt(1)
	v_dot2_f32_f16 v17, v49, v57, v17
	v_dot2_f32_f16 v18, v49, v58, v18
	;; [unrolled: 1-line block ×16, first 2 shown]
	ds_read_b128 v[57:60], v5 offset:30208
	v_dot2_f32_f16 v12, v49, v45, v12
	v_dot2_f32_f16 v13, v49, v46, v13
	;; [unrolled: 1-line block ×16, first 2 shown]
	ds_read_b128 v[45:48], v5 offset:30464
	ds_read_b128 v[49:52], v4 offset:14080
	s_waitcnt lgkmcnt(2)
	v_dot2_f32_f16 v8, v53, v57, v8
	v_dot2_f32_f16 v9, v53, v58, v9
	;; [unrolled: 1-line block ×16, first 2 shown]
	s_waitcnt lgkmcnt(1)
	v_dot2_f32_f16 v86, v53, v45, v86
	v_dot2_f32_f16 v87, v53, v46, v87
	;; [unrolled: 1-line block ×16, first 2 shown]
	ds_read_b128 v[53:56], v4 offset:14336
	s_waitcnt lgkmcnt(1)
	v_dot2_f32_f16 v17, v49, v57, v17
	v_dot2_f32_f16 v18, v49, v58, v18
	;; [unrolled: 1-line block ×16, first 2 shown]
	ds_read_b128 v[57:60], v5 offset:30720
	v_dot2_f32_f16 v12, v49, v45, v12
	v_dot2_f32_f16 v13, v49, v46, v13
	;; [unrolled: 1-line block ×16, first 2 shown]
	ds_read_b128 v[45:48], v5 offset:30976
	ds_read_b128 v[49:52], v4 offset:14592
	s_waitcnt lgkmcnt(2)
	v_dot2_f32_f16 v8, v53, v57, v8
	v_dot2_f32_f16 v9, v53, v58, v9
	;; [unrolled: 1-line block ×16, first 2 shown]
	s_waitcnt lgkmcnt(1)
	v_dot2_f32_f16 v86, v53, v45, v86
	v_dot2_f32_f16 v87, v53, v46, v87
	;; [unrolled: 1-line block ×16, first 2 shown]
	ds_read_b128 v[53:56], v4 offset:14848
	s_waitcnt lgkmcnt(1)
	v_dot2_f32_f16 v17, v49, v57, v17
	v_dot2_f32_f16 v18, v49, v58, v18
	;; [unrolled: 1-line block ×16, first 2 shown]
	ds_read_b128 v[57:60], v5 offset:31232
	v_dot2_f32_f16 v12, v49, v45, v12
	v_dot2_f32_f16 v13, v49, v46, v13
	;; [unrolled: 1-line block ×16, first 2 shown]
	ds_read_b128 v[45:48], v5 offset:31488
	ds_read_b128 v[49:52], v4 offset:15104
	s_waitcnt lgkmcnt(2)
	v_dot2_f32_f16 v8, v53, v57, v8
	v_dot2_f32_f16 v9, v53, v58, v9
	;; [unrolled: 1-line block ×16, first 2 shown]
	s_waitcnt lgkmcnt(1)
	v_dot2_f32_f16 v86, v53, v45, v86
	v_dot2_f32_f16 v87, v53, v46, v87
	;; [unrolled: 1-line block ×16, first 2 shown]
	ds_read_b128 v[53:56], v4 offset:15360
	s_waitcnt lgkmcnt(1)
	v_dot2_f32_f16 v17, v49, v57, v17
	v_dot2_f32_f16 v18, v49, v58, v18
	v_dot2_f32_f16 v98, v49, v59, v98
	v_dot2_f32_f16 v99, v49, v60, v99
	v_dot2_f32_f16 v67, v50, v57, v67
	v_dot2_f32_f16 v68, v50, v58, v68
	v_dot2_f32_f16 v69, v50, v59, v69
	v_dot2_f32_f16 v70, v50, v60, v70
	v_dot2_f32_f16 v71, v51, v57, v71
	v_dot2_f32_f16 v72, v51, v58, v72
	v_dot2_f32_f16 v73, v51, v59, v73
	v_dot2_f32_f16 v74, v51, v60, v74
	v_dot2_f32_f16 v63, v52, v57, v63
	v_dot2_f32_f16 v64, v52, v58, v64
	v_dot2_f32_f16 v65, v52, v59, v65
	v_dot2_f32_f16 v66, v52, v60, v66
	ds_read_b128 v[57:60], v5 offset:31744
	v_dot2_f32_f16 v12, v49, v45, v12
	v_dot2_f32_f16 v13, v49, v46, v13
	;; [unrolled: 1-line block ×16, first 2 shown]
	ds_read_b128 v[45:48], v5 offset:32000
	ds_read_b128 v[49:52], v4 offset:15616
	s_waitcnt lgkmcnt(2)
	v_dot2_f32_f16 v8, v53, v57, v8
	v_dot2_f32_f16 v9, v53, v58, v9
	v_dot2_f32_f16 v10, v53, v59, v10
	v_dot2_f32_f16 v11, v53, v60, v11
	v_dot2_f32_f16 v16, v54, v57, v16
	v_dot2_f32_f16 v19, v54, v58, v19
	v_dot2_f32_f16 v20, v54, v59, v20
	v_dot2_f32_f16 v21, v54, v60, v21
	v_dot2_f32_f16 v22, v55, v57, v22
	v_dot2_f32_f16 v23, v55, v58, v23
	v_dot2_f32_f16 v24, v55, v59, v24
	v_dot2_f32_f16 v29, v55, v60, v29
	v_dot2_f32_f16 v119, v56, v57, v104
	v_dot2_f32_f16 v83, v56, v58, v83
	v_dot2_f32_f16 v84, v56, v59, v84
	v_dot2_f32_f16 v85, v56, v60, v85
	s_waitcnt lgkmcnt(1)
	v_dot2_f32_f16 v86, v53, v45, v86
	v_dot2_f32_f16 v120, v53, v46, v87
	;; [unrolled: 1-line block ×16, first 2 shown]
	ds_read_b128 v[53:56], v4 offset:15872
	s_waitcnt lgkmcnt(1)
	v_dot2_f32_f16 v0, v51, v58, v72
	v_dot2_f32_f16 v2, v51, v59, v73
	;; [unrolled: 1-line block ×3, first 2 shown]
	ds_read_b128 v[72:75], v5 offset:32256
	ds_read_b128 v[111:114], v5 offset:32512
	;; [unrolled: 1-line block ×3, first 2 shown]
	v_dot2_f32_f16 v37, v49, v59, v98
	v_dot2_f32_f16 v27, v50, v59, v69
	;; [unrolled: 1-line block ×20, first 2 shown]
	s_waitcnt lgkmcnt(2)
	v_dot2_f32_f16 v110, v53, v72, v8
	v_dot2_f32_f16 v109, v53, v73, v9
	v_dot2_f32_f16 v106, v54, v72, v16
	v_dot2_f32_f16 v105, v54, v73, v19
	v_dot2_f32_f16 v104, v54, v74, v20
	v_dot2_f32_f16 v103, v54, v75, v21
	v_dot2_f32_f16 v100, v55, v72, v22
	v_dot2_f32_f16 v98, v55, v73, v23
	v_dot2_f32_f16 v96, v55, v74, v24
	v_dot2_f32_f16 v95, v55, v75, v29
	s_waitcnt lgkmcnt(1)
	v_dot2_f32_f16 v94, v54, v111, v89
	v_dot2_f32_f16 v93, v54, v112, v122
	;; [unrolled: 1-line block ×4, first 2 shown]
	s_waitcnt lgkmcnt(0)
	v_dot2_f32_f16 v69, v115, v74, v37
	buffer_load_dword v37, off, s[76:79], 0 offset:68 ; 4-byte Folded Reload
	v_dot2_f32_f16 v29, v116, v74, v27
	buffer_load_dword v27, off, s[76:79], 0 offset:60 ; 4-byte Folded Reload
	;; [unrolled: 2-line block ×6, first 2 shown]
	buffer_load_dword v8, off, s[76:79], 0 offset:36 ; 4-byte Folded Reload
	buffer_load_dword v9, off, s[76:79], 0 offset:40 ; 4-byte Folded Reload
	v_dot2_f32_f16 v6, v50, v47, v6
	v_dot2_f32_f16 v40, v50, v58, v68
	;; [unrolled: 1-line block ×16, first 2 shown]
	v_mov_b32_e32 v6, v38
	v_dot2_f32_f16 v92, v56, v72, v119
	v_dot2_f32_f16 v90, v56, v73, v83
	;; [unrolled: 1-line block ×18, first 2 shown]
	v_mov_b32_e32 v25, v31
	v_dot2_f32_f16 v56, v117, v75, v28
	v_mov_b32_e32 v28, v30
	v_dot2_f32_f16 v33, v118, v72, v57
	v_dot2_f32_f16 v81, v118, v73, v63
	;; [unrolled: 1-line block ×18, first 2 shown]
	v_add_u32_e32 v6, s38, v6
	s_waitcnt vmcnt(5)
	v_add_u32_e32 v1, s44, v1
	s_waitcnt vmcnt(4)
	;; [unrolled: 2-line block ×5, first 2 shown]
	ds_write2st64_b32 v7, v9, v8 offset1:2
	buffer_load_dword v8, off, s[76:79], 0 offset:28 ; 4-byte Folded Reload
	buffer_load_dword v9, off, s[76:79], 0 offset:32 ; 4-byte Folded Reload
	s_waitcnt vmcnt(0)
	ds_write2st64_b32 v7, v9, v8 offset0:4 offset1:6
	ds_write2st64_b32 v7, v34, v35 offset0:8 offset1:10
	buffer_load_dword v8, off, s[76:79], 0 offset:64 ; 4-byte Folded Reload
	v_mov_b32_e32 v35, v32
	s_waitcnt vmcnt(0)
	ds_write2st64_b32 v7, v36, v8 offset0:12 offset1:14
	buffer_load_dword v8, off, s[76:79], 0 offset:52 ; 4-byte Folded Reload
	buffer_load_dword v9, off, s[76:79], 0 offset:56 ; 4-byte Folded Reload
	s_waitcnt vmcnt(0)
	ds_write2st64_b32 v7, v9, v8 offset0:64 offset1:66
	buffer_load_dword v8, off, s[76:79], 0 offset:44 ; 4-byte Folded Reload
	buffer_load_dword v9, off, s[76:79], 0 offset:48 ; 4-byte Folded Reload
	s_waitcnt vmcnt(0)
	ds_write2st64_b32 v7, v9, v8 offset0:68 offset1:70
	ds_write2st64_b32 v7, v44, v43 offset0:72 offset1:74
	buffer_load_dword v43, off, s[76:79], 0 offset:20 ; 4-byte Folded Reload
	buffer_load_dword v44, off, s[76:79], 0 offset:24 ; 4-byte Folded Reload
	ds_write2st64_b32 v7, v42, v41 offset0:76 offset1:78
	s_cbranch_scc1 .LBB6_1
; %bb.2:
	s_waitcnt vmcnt(0) lgkmcnt(0)
	s_barrier
	ds_read_b128 v[6:9], v4
	ds_read_b128 v[10:13], v5 offset:16384
	ds_read_b128 v[14:17], v5 offset:16640
	;; [unrolled: 1-line block ×3, first 2 shown]
	s_mul_i32 s2, s14, s70
	s_mul_hi_u32 s3, s14, s69
	s_add_i32 s2, s3, s2
	s_waitcnt lgkmcnt(2)
	v_dot2_f32_f16 v0, v6, v10, v110
	v_dot2_f32_f16 v1, v6, v11, v109
	;; [unrolled: 1-line block ×16, first 2 shown]
	s_waitcnt lgkmcnt(1)
	v_dot2_f32_f16 v39, v6, v14, v102
	v_dot2_f32_f16 v40, v6, v15, v101
	;; [unrolled: 1-line block ×16, first 2 shown]
	ds_read_b128 v[6:9], v4 offset:512
	s_waitcnt lgkmcnt(1)
	v_dot2_f32_f16 v71, v18, v10, v71
	v_dot2_f32_f16 v70, v18, v11, v70
	;; [unrolled: 1-line block ×16, first 2 shown]
	ds_read_b128 v[10:13], v5 offset:16896
	v_dot2_f32_f16 v63, v18, v14, v63
	v_dot2_f32_f16 v61, v18, v15, v61
	;; [unrolled: 1-line block ×16, first 2 shown]
	ds_read_b128 v[14:17], v5 offset:17152
	ds_read_b128 v[18:21], v4 offset:768
	s_waitcnt lgkmcnt(2)
	v_dot2_f32_f16 v0, v6, v10, v0
	v_dot2_f32_f16 v1, v6, v11, v1
	;; [unrolled: 1-line block ×16, first 2 shown]
	s_waitcnt lgkmcnt(1)
	v_dot2_f32_f16 v39, v6, v14, v39
	v_dot2_f32_f16 v40, v6, v15, v40
	;; [unrolled: 1-line block ×16, first 2 shown]
	ds_read_b128 v[6:9], v4 offset:1024
	s_waitcnt lgkmcnt(1)
	v_dot2_f32_f16 v71, v18, v10, v71
	v_dot2_f32_f16 v70, v18, v11, v70
	;; [unrolled: 1-line block ×16, first 2 shown]
	ds_read_b128 v[10:13], v5 offset:17408
	v_dot2_f32_f16 v63, v18, v14, v63
	v_dot2_f32_f16 v61, v18, v15, v61
	;; [unrolled: 1-line block ×16, first 2 shown]
	ds_read_b128 v[14:17], v5 offset:17664
	ds_read_b128 v[18:21], v4 offset:1280
	s_waitcnt lgkmcnt(2)
	v_dot2_f32_f16 v0, v6, v10, v0
	v_dot2_f32_f16 v1, v6, v11, v1
	;; [unrolled: 1-line block ×16, first 2 shown]
	s_waitcnt lgkmcnt(1)
	v_dot2_f32_f16 v39, v6, v14, v39
	v_dot2_f32_f16 v40, v6, v15, v40
	;; [unrolled: 1-line block ×16, first 2 shown]
	ds_read_b128 v[6:9], v4 offset:1536
	s_waitcnt lgkmcnt(1)
	v_dot2_f32_f16 v71, v18, v10, v71
	v_dot2_f32_f16 v70, v18, v11, v70
	;; [unrolled: 1-line block ×16, first 2 shown]
	ds_read_b128 v[10:13], v5 offset:17920
	v_dot2_f32_f16 v63, v18, v14, v63
	v_dot2_f32_f16 v61, v18, v15, v61
	;; [unrolled: 1-line block ×16, first 2 shown]
	ds_read_b128 v[14:17], v5 offset:18176
	ds_read_b128 v[18:21], v4 offset:1792
	s_waitcnt lgkmcnt(2)
	v_dot2_f32_f16 v0, v6, v10, v0
	v_dot2_f32_f16 v1, v6, v11, v1
	;; [unrolled: 1-line block ×16, first 2 shown]
	s_waitcnt lgkmcnt(1)
	v_dot2_f32_f16 v39, v6, v14, v39
	v_dot2_f32_f16 v40, v6, v15, v40
	v_dot2_f32_f16 v41, v6, v16, v41
	v_dot2_f32_f16 v42, v6, v17, v42
	v_dot2_f32_f16 v43, v7, v14, v43
	v_dot2_f32_f16 v44, v7, v15, v44
	v_dot2_f32_f16 v45, v7, v16, v45
	v_dot2_f32_f16 v46, v7, v17, v46
	v_dot2_f32_f16 v47, v8, v14, v47
	v_dot2_f32_f16 v48, v8, v15, v48
	v_dot2_f32_f16 v60, v8, v16, v60
	v_dot2_f32_f16 v64, v8, v17, v64
	v_dot2_f32_f16 v65, v9, v14, v65
	v_dot2_f32_f16 v78, v9, v15, v78
	v_dot2_f32_f16 v77, v9, v16, v77
	v_dot2_f32_f16 v76, v9, v17, v76
	ds_read_b128 v[6:9], v4 offset:2048
	s_waitcnt lgkmcnt(1)
	v_dot2_f32_f16 v71, v18, v10, v71
	v_dot2_f32_f16 v70, v18, v11, v70
	;; [unrolled: 1-line block ×16, first 2 shown]
	ds_read_b128 v[10:13], v5 offset:18432
	v_dot2_f32_f16 v63, v18, v14, v63
	v_dot2_f32_f16 v61, v18, v15, v61
	;; [unrolled: 1-line block ×16, first 2 shown]
	ds_read_b128 v[14:17], v5 offset:18688
	ds_read_b128 v[18:21], v4 offset:2304
	s_waitcnt lgkmcnt(2)
	v_dot2_f32_f16 v0, v6, v10, v0
	v_dot2_f32_f16 v1, v6, v11, v1
	;; [unrolled: 1-line block ×16, first 2 shown]
	s_waitcnt lgkmcnt(1)
	v_dot2_f32_f16 v39, v6, v14, v39
	v_dot2_f32_f16 v40, v6, v15, v40
	;; [unrolled: 1-line block ×16, first 2 shown]
	ds_read_b128 v[6:9], v4 offset:2560
	s_waitcnt lgkmcnt(1)
	v_dot2_f32_f16 v71, v18, v10, v71
	v_dot2_f32_f16 v70, v18, v11, v70
	;; [unrolled: 1-line block ×16, first 2 shown]
	ds_read_b128 v[10:13], v5 offset:18944
	v_dot2_f32_f16 v63, v18, v14, v63
	v_dot2_f32_f16 v61, v18, v15, v61
	;; [unrolled: 1-line block ×16, first 2 shown]
	ds_read_b128 v[14:17], v5 offset:19200
	ds_read_b128 v[18:21], v4 offset:2816
	s_waitcnt lgkmcnt(2)
	v_dot2_f32_f16 v0, v6, v10, v0
	v_dot2_f32_f16 v1, v6, v11, v1
	;; [unrolled: 1-line block ×16, first 2 shown]
	s_waitcnt lgkmcnt(1)
	v_dot2_f32_f16 v39, v6, v14, v39
	v_dot2_f32_f16 v40, v6, v15, v40
	;; [unrolled: 1-line block ×16, first 2 shown]
	ds_read_b128 v[6:9], v4 offset:3072
	s_waitcnt lgkmcnt(1)
	v_dot2_f32_f16 v71, v18, v10, v71
	v_dot2_f32_f16 v70, v18, v11, v70
	;; [unrolled: 1-line block ×16, first 2 shown]
	ds_read_b128 v[10:13], v5 offset:19456
	v_dot2_f32_f16 v63, v18, v14, v63
	v_dot2_f32_f16 v61, v18, v15, v61
	;; [unrolled: 1-line block ×16, first 2 shown]
	ds_read_b128 v[14:17], v5 offset:19712
	ds_read_b128 v[18:21], v4 offset:3328
	s_waitcnt lgkmcnt(2)
	v_dot2_f32_f16 v0, v6, v10, v0
	v_dot2_f32_f16 v1, v6, v11, v1
	;; [unrolled: 1-line block ×16, first 2 shown]
	s_waitcnt lgkmcnt(1)
	v_dot2_f32_f16 v39, v6, v14, v39
	v_dot2_f32_f16 v40, v6, v15, v40
	;; [unrolled: 1-line block ×16, first 2 shown]
	ds_read_b128 v[6:9], v4 offset:3584
	s_waitcnt lgkmcnt(1)
	v_dot2_f32_f16 v71, v18, v10, v71
	v_dot2_f32_f16 v70, v18, v11, v70
	;; [unrolled: 1-line block ×16, first 2 shown]
	ds_read_b128 v[10:13], v5 offset:19968
	v_dot2_f32_f16 v63, v18, v14, v63
	v_dot2_f32_f16 v61, v18, v15, v61
	;; [unrolled: 1-line block ×16, first 2 shown]
	ds_read_b128 v[14:17], v5 offset:20224
	ds_read_b128 v[18:21], v4 offset:3840
	s_waitcnt lgkmcnt(2)
	v_dot2_f32_f16 v0, v6, v10, v0
	v_dot2_f32_f16 v1, v6, v11, v1
	;; [unrolled: 1-line block ×16, first 2 shown]
	s_waitcnt lgkmcnt(1)
	v_dot2_f32_f16 v39, v6, v14, v39
	v_dot2_f32_f16 v40, v6, v15, v40
	;; [unrolled: 1-line block ×16, first 2 shown]
	ds_read_b128 v[6:9], v4 offset:4096
	s_waitcnt lgkmcnt(1)
	v_dot2_f32_f16 v71, v18, v10, v71
	v_dot2_f32_f16 v70, v18, v11, v70
	;; [unrolled: 1-line block ×16, first 2 shown]
	ds_read_b128 v[10:13], v5 offset:20480
	v_dot2_f32_f16 v63, v18, v14, v63
	v_dot2_f32_f16 v61, v18, v15, v61
	;; [unrolled: 1-line block ×16, first 2 shown]
	ds_read_b128 v[14:17], v5 offset:20736
	ds_read_b128 v[18:21], v4 offset:4352
	s_waitcnt lgkmcnt(2)
	v_dot2_f32_f16 v0, v6, v10, v0
	v_dot2_f32_f16 v1, v6, v11, v1
	;; [unrolled: 1-line block ×16, first 2 shown]
	s_waitcnt lgkmcnt(1)
	v_dot2_f32_f16 v39, v6, v14, v39
	v_dot2_f32_f16 v40, v6, v15, v40
	;; [unrolled: 1-line block ×16, first 2 shown]
	ds_read_b128 v[6:9], v4 offset:4608
	s_waitcnt lgkmcnt(1)
	v_dot2_f32_f16 v71, v18, v10, v71
	v_dot2_f32_f16 v70, v18, v11, v70
	;; [unrolled: 1-line block ×16, first 2 shown]
	ds_read_b128 v[10:13], v5 offset:20992
	v_dot2_f32_f16 v63, v18, v14, v63
	v_dot2_f32_f16 v61, v18, v15, v61
	;; [unrolled: 1-line block ×16, first 2 shown]
	ds_read_b128 v[14:17], v5 offset:21248
	ds_read_b128 v[18:21], v4 offset:4864
	s_waitcnt lgkmcnt(2)
	v_dot2_f32_f16 v0, v6, v10, v0
	v_dot2_f32_f16 v1, v6, v11, v1
	;; [unrolled: 1-line block ×16, first 2 shown]
	s_waitcnt lgkmcnt(1)
	v_dot2_f32_f16 v39, v6, v14, v39
	v_dot2_f32_f16 v40, v6, v15, v40
	;; [unrolled: 1-line block ×16, first 2 shown]
	ds_read_b128 v[6:9], v4 offset:5120
	s_waitcnt lgkmcnt(1)
	v_dot2_f32_f16 v71, v18, v10, v71
	v_dot2_f32_f16 v70, v18, v11, v70
	;; [unrolled: 1-line block ×16, first 2 shown]
	ds_read_b128 v[10:13], v5 offset:21504
	v_dot2_f32_f16 v63, v18, v14, v63
	v_dot2_f32_f16 v61, v18, v15, v61
	;; [unrolled: 1-line block ×16, first 2 shown]
	ds_read_b128 v[14:17], v5 offset:21760
	ds_read_b128 v[18:21], v4 offset:5376
	s_waitcnt lgkmcnt(2)
	v_dot2_f32_f16 v0, v6, v10, v0
	v_dot2_f32_f16 v1, v6, v11, v1
	;; [unrolled: 1-line block ×16, first 2 shown]
	s_waitcnt lgkmcnt(1)
	v_dot2_f32_f16 v39, v6, v14, v39
	v_dot2_f32_f16 v40, v6, v15, v40
	v_dot2_f32_f16 v41, v6, v16, v41
	v_dot2_f32_f16 v42, v6, v17, v42
	v_dot2_f32_f16 v43, v7, v14, v43
	v_dot2_f32_f16 v44, v7, v15, v44
	v_dot2_f32_f16 v45, v7, v16, v45
	v_dot2_f32_f16 v46, v7, v17, v46
	v_dot2_f32_f16 v47, v8, v14, v47
	v_dot2_f32_f16 v48, v8, v15, v48
	v_dot2_f32_f16 v60, v8, v16, v60
	v_dot2_f32_f16 v64, v8, v17, v64
	v_dot2_f32_f16 v65, v9, v14, v65
	v_dot2_f32_f16 v78, v9, v15, v78
	v_dot2_f32_f16 v77, v9, v16, v77
	v_dot2_f32_f16 v76, v9, v17, v76
	ds_read_b128 v[6:9], v4 offset:5632
	s_waitcnt lgkmcnt(1)
	v_dot2_f32_f16 v71, v18, v10, v71
	v_dot2_f32_f16 v70, v18, v11, v70
	;; [unrolled: 1-line block ×16, first 2 shown]
	ds_read_b128 v[10:13], v5 offset:22016
	v_dot2_f32_f16 v63, v18, v14, v63
	v_dot2_f32_f16 v61, v18, v15, v61
	;; [unrolled: 1-line block ×16, first 2 shown]
	ds_read_b128 v[14:17], v5 offset:22272
	ds_read_b128 v[18:21], v4 offset:5888
	s_waitcnt lgkmcnt(2)
	v_dot2_f32_f16 v0, v6, v10, v0
	v_dot2_f32_f16 v1, v6, v11, v1
	;; [unrolled: 1-line block ×16, first 2 shown]
	s_waitcnt lgkmcnt(1)
	v_dot2_f32_f16 v39, v6, v14, v39
	v_dot2_f32_f16 v40, v6, v15, v40
	;; [unrolled: 1-line block ×16, first 2 shown]
	ds_read_b128 v[6:9], v4 offset:6144
	s_waitcnt lgkmcnt(1)
	v_dot2_f32_f16 v71, v18, v10, v71
	v_dot2_f32_f16 v70, v18, v11, v70
	;; [unrolled: 1-line block ×16, first 2 shown]
	ds_read_b128 v[10:13], v5 offset:22528
	v_dot2_f32_f16 v63, v18, v14, v63
	v_dot2_f32_f16 v61, v18, v15, v61
	;; [unrolled: 1-line block ×16, first 2 shown]
	ds_read_b128 v[14:17], v5 offset:22784
	ds_read_b128 v[18:21], v4 offset:6400
	s_waitcnt lgkmcnt(2)
	v_dot2_f32_f16 v0, v6, v10, v0
	v_dot2_f32_f16 v1, v6, v11, v1
	;; [unrolled: 1-line block ×16, first 2 shown]
	s_waitcnt lgkmcnt(1)
	v_dot2_f32_f16 v39, v6, v14, v39
	v_dot2_f32_f16 v40, v6, v15, v40
	;; [unrolled: 1-line block ×16, first 2 shown]
	ds_read_b128 v[6:9], v4 offset:6656
	s_waitcnt lgkmcnt(1)
	v_dot2_f32_f16 v71, v18, v10, v71
	v_dot2_f32_f16 v70, v18, v11, v70
	;; [unrolled: 1-line block ×16, first 2 shown]
	ds_read_b128 v[10:13], v5 offset:23040
	v_dot2_f32_f16 v63, v18, v14, v63
	v_dot2_f32_f16 v61, v18, v15, v61
	;; [unrolled: 1-line block ×16, first 2 shown]
	ds_read_b128 v[14:17], v5 offset:23296
	ds_read_b128 v[18:21], v4 offset:6912
	s_waitcnt lgkmcnt(2)
	v_dot2_f32_f16 v0, v6, v10, v0
	v_dot2_f32_f16 v1, v6, v11, v1
	;; [unrolled: 1-line block ×16, first 2 shown]
	s_waitcnt lgkmcnt(1)
	v_dot2_f32_f16 v39, v6, v14, v39
	v_dot2_f32_f16 v40, v6, v15, v40
	;; [unrolled: 1-line block ×16, first 2 shown]
	ds_read_b128 v[6:9], v4 offset:7168
	s_waitcnt lgkmcnt(1)
	v_dot2_f32_f16 v71, v18, v10, v71
	v_dot2_f32_f16 v70, v18, v11, v70
	;; [unrolled: 1-line block ×16, first 2 shown]
	ds_read_b128 v[10:13], v5 offset:23552
	v_dot2_f32_f16 v63, v18, v14, v63
	v_dot2_f32_f16 v61, v18, v15, v61
	;; [unrolled: 1-line block ×16, first 2 shown]
	ds_read_b128 v[14:17], v5 offset:23808
	ds_read_b128 v[18:21], v4 offset:7424
	s_waitcnt lgkmcnt(2)
	v_dot2_f32_f16 v0, v6, v10, v0
	v_dot2_f32_f16 v1, v6, v11, v1
	;; [unrolled: 1-line block ×16, first 2 shown]
	s_waitcnt lgkmcnt(1)
	v_dot2_f32_f16 v39, v6, v14, v39
	v_dot2_f32_f16 v85, v6, v15, v40
	;; [unrolled: 1-line block ×16, first 2 shown]
	ds_read_b128 v[6:9], v4 offset:7680
	ds_read_b128 v[44:47], v5 offset:24064
	s_waitcnt lgkmcnt(2)
	v_dot2_f32_f16 v69, v18, v12, v69
	v_dot2_f32_f16 v68, v18, v13, v68
	;; [unrolled: 1-line block ×15, first 2 shown]
	ds_read_b128 v[52:55], v5 offset:24320
	ds_read_b128 v[61:64], v4 offset:7936
	s_waitcnt lgkmcnt(2)
	v_dot2_f32_f16 v109, v6, v44, v0
	buffer_load_dword v0, off, s[76:79], 0 offset:124 ; 4-byte Folded Reload
	v_dot2_f32_f16 v110, v6, v45, v1
	buffer_load_dword v1, off, s[76:79], 0 offset:120 ; 4-byte Folded Reload
	s_mul_i32 s3, s15, s69
	s_add_i32 s3, s2, s3
	s_mul_i32 s2, s14, s69
	s_lshl_b64 s[2:3], s[2:3], 1
	s_load_dwordx2 s[0:1], s[4:5], 0x10
	s_add_u32 s8, s54, s2
	s_addc_u32 s6, s55, s3
	s_mul_i32 s2, s12, s70
	s_mul_hi_u32 s3, s12, s69
	s_add_i32 s2, s3, s2
	s_mul_i32 s3, s13, s69
	s_add_i32 s3, s2, s3
	s_mul_i32 s2, s12, s69
	s_lshl_b64 s[2:3], s[2:3], 1
	s_waitcnt lgkmcnt(0)
	s_add_u32 s12, s0, s2
	s_addc_u32 s0, s1, s3
	s_lshl_b32 s14, s42, 1
	s_and_b32 s13, s0, 0xffff
	s_mov_b32 s15, 0x20000
	v_dot2_f32_f16 v98, v20, v11, v23
	v_dot2_f32_f16 v100, v21, v10, v33
	;; [unrolled: 1-line block ×14, first 2 shown]
	s_lshl_b32 s7, s53, 6
	v_dot2_f32_f16 v35, v9, v52, v65
	v_dot2_f32_f16 v14, v64, v46, v12
	;; [unrolled: 1-line block ×43, first 2 shown]
	s_waitcnt vmcnt(1)
	v_lshl_or_b32 v31, s37, 7, v0
	v_mul_lo_u32 v0, v31, s52
	s_waitcnt vmcnt(0)
	v_lshl_add_u32 v34, s39, 7, v1
	v_dot2_f32_f16 v18, v8, v46, v32
	v_dot2_f32_f16 v32, v7, v54, v88
	v_mad_u64_u32 v[0:1], s[2:3], v34, s53, v[0:1]
	v_dot2_f32_f16 v33, v7, v55, v89
	v_cmp_gt_i32_e32 vcc, s33, v34
	v_lshlrev_b32_e32 v1, 1, v0
	buffer_load_dwordx2 v[20:21], v1, s[12:15], 0 offen
	v_add_u32_e32 v2, s52, v0
	v_add_u32_e32 v65, s52, v2
	v_add_lshl_u32 v12, v65, s7, 1
	buffer_load_dwordx2 v[84:85], v12, s[12:15], 0 offen
	v_add_lshl_u32 v1, v0, s7, 1
	buffer_load_dwordx2 v[48:49], v1, s[12:15], 0 offen
	v_lshlrev_b32_e32 v0, 1, v2
	buffer_load_dwordx2 v[70:71], v0, s[12:15], 0 offen
	v_add_lshl_u32 v0, v2, s7, 1
	buffer_load_dwordx2 v[77:78], v0, s[12:15], 0 offen
	v_lshlrev_b32_e32 v2, 1, v65
	buffer_load_dwordx2 v[82:83], v2, s[12:15], 0 offen
	v_add_u32_e32 v45, s52, v65
	v_dot2_f32_f16 v1, v61, v47, v68
	v_lshlrev_b32_e32 v47, 1, v45
	buffer_load_dwordx2 v[86:87], v47, s[12:15], 0 offen
	v_dot2_f32_f16 v68, v64, v53, v73
	v_add_lshl_u32 v53, v45, s7, 1
	buffer_load_dwordx2 v[88:89], v53, s[12:15], 0 offen
	v_cmp_gt_i32_e64 s[2:3], s29, v31
	s_and_b64 s[0:1], s[2:3], vcc
	v_dot2_f32_f16 v118, v8, v52, v90
	v_dot2_f32_f16 v23, v8, v55, v92
	;; [unrolled: 1-line block ×12, first 2 shown]
	v_or_b32_e32 v59, 1, v31
	v_dot2_f32_f16 v3, v61, v55, v57
	v_dot2_f32_f16 v7, v62, v55, v104
	;; [unrolled: 1-line block ×3, first 2 shown]
	s_lshl_b32 s10, s40, 1
	s_and_b32 s9, s6, 0xffff
	s_mov_b32 s11, s15
	s_waitcnt vmcnt(7)
	v_cndmask_b32_e64 v73, 0, v21, s[0:1]
	v_cndmask_b32_e64 v21, 0, v20, s[0:1]
	v_cvt_f32_f16_e32 v47, v21
	v_cvt_f32_f16_sdwa v52, v21 dst_sel:DWORD dst_unused:UNUSED_PAD src0_sel:WORD_1
	v_dot2_f32_f16 v21, v64, v55, v75
	v_dot2_f32_f16 v20, v64, v54, v74
	v_add_f32_e32 v47, v109, v47
	v_max_f32_e32 v75, 0, v47
	v_add_f32_e32 v47, v110, v52
	v_add_u32_e32 v52, 64, v34
	v_cmp_gt_i32_e64 s[0:1], s33, v52
	s_and_b64 s[2:3], s[2:3], s[0:1]
	s_waitcnt vmcnt(5)
	v_cndmask_b32_e64 v63, 0, v49, s[2:3]
	v_cndmask_b32_e64 v49, 0, v48, s[2:3]
	v_cvt_f32_f16_e32 v53, v49
	v_max_f32_e32 v80, 0, v47
	v_mad_u64_u32 v[47:48], s[2:3], s52, 61, v[45:46]
	v_add_f32_e32 v45, v114, v53
	v_cvt_f32_f16_sdwa v53, v49 dst_sel:DWORD dst_unused:UNUSED_PAD src0_sel:WORD_1
	v_max_f32_e32 v74, 0, v45
	v_lshlrev_b32_e32 v45, 1, v47
	buffer_load_dwordx2 v[48:49], v45, s[12:15], 0 offen
	v_cmp_gt_i32_e64 s[2:3], s29, v59
	s_and_b64 s[4:5], s[2:3], vcc
	v_add_lshl_u32 v57, v47, s7, 1
	buffer_load_dwordx2 v[90:91], v57, s[12:15], 0 offen
	v_add_f32_e32 v45, v115, v53
	s_waitcnt vmcnt(6)
	v_cndmask_b32_e64 v53, 0, v70, s[4:5]
	v_cvt_f32_f16_e32 v55, v53
	v_max_f32_e32 v81, 0, v45
	s_and_b64 s[2:3], s[2:3], s[0:1]
	v_add_u32_e32 v47, s52, v47
	v_add_f32_e32 v45, v111, v55
	v_max_f32_e32 v62, 0, v45
	v_cvt_f32_f16_sdwa v45, v53 dst_sel:DWORD dst_unused:UNUSED_PAD src0_sel:WORD_1
	s_waitcnt vmcnt(5)
	v_cndmask_b32_e64 v53, 0, v77, s[2:3]
	v_cvt_f32_f16_e32 v55, v53
	v_lshlrev_b32_e32 v57, 1, v47
	buffer_load_dwordx2 v[92:93], v57, s[12:15], 0 offen
	v_add_f32_e32 v45, v112, v45
	v_max_f32_e32 v72, 0, v45
	v_add_f32_e32 v45, v116, v55
	v_cvt_f32_f16_sdwa v53, v53 dst_sel:DWORD dst_unused:UNUSED_PAD src0_sel:WORD_1
	v_or_b32_e32 v55, 2, v31
	v_cndmask_b32_e64 v76, 0, v78, s[2:3]
	v_cmp_gt_i32_e64 s[2:3], s29, v55
	v_add_lshl_u32 v57, v47, s7, 1
	v_cndmask_b32_e64 v54, 0, v71, s[4:5]
	buffer_load_dwordx2 v[94:95], v57, s[12:15], 0 offen
	s_and_b64 s[4:5], s[2:3], vcc
	s_waitcnt vmcnt(6)
	v_cndmask_b32_e64 v57, 0, v82, s[4:5]
	v_max_f32_e32 v99, 0, v45
	v_add_f32_e32 v45, v117, v53
	v_cvt_f32_f16_sdwa v53, v57 dst_sel:DWORD dst_unused:UNUSED_PAD src0_sel:WORD_1
	v_cvt_f32_f16_e32 v61, v57
	v_add_u32_e32 v47, s52, v47
	v_max_f32_e32 v100, 0, v45
	v_add_f32_e32 v36, v36, v53
	v_add_f32_e32 v45, v113, v61
	v_lshlrev_b32_e32 v57, 1, v47
	s_and_b64 s[2:3], s[2:3], s[0:1]
	v_max_f32_e32 v79, 0, v36
	v_add_lshl_u32 v36, v47, s7, 1
	v_cndmask_b32_e64 v67, 0, v83, s[4:5]
	buffer_load_dwordx2 v[96:97], v57, s[12:15], 0 offen
	v_max_f32_e32 v78, 0, v45
	v_cndmask_b32_e64 v45, 0, v84, s[2:3]
	buffer_load_dwordx2 v[83:84], v36, s[12:15], 0 offen
	v_or_b32_e32 v57, 3, v31
	v_cndmask_b32_e64 v65, 0, v85, s[2:3]
	v_cmp_gt_i32_e64 s[2:3], s29, v57
	v_add_u32_e32 v47, s52, v47
	s_and_b64 s[4:5], s[2:3], vcc
	v_lshlrev_b32_e32 v70, 1, v47
	v_cvt_f32_f16_e32 v53, v45
	s_waitcnt vmcnt(7)
	v_cndmask_b32_e64 v61, 0, v86, s[4:5]
	buffer_load_dwordx2 v[85:86], v70, s[12:15], 0 offen
	v_cvt_f32_f16_sdwa v45, v45 dst_sel:DWORD dst_unused:UNUSED_PAD src0_sel:WORD_1
	v_add_f32_e32 v36, v118, v53
	s_and_b64 s[2:3], s[2:3], s[0:1]
	v_add_lshl_u32 v47, v47, s7, 1
	v_cndmask_b32_e64 v53, 0, v87, s[4:5]
	v_max_f32_e32 v82, 0, v36
	v_add_f32_e32 v36, v119, v45
	s_waitcnt vmcnt(7)
	v_cndmask_b32_e64 v45, 0, v88, s[2:3]
	buffer_load_dwordx2 v[87:88], v47, s[12:15], 0 offen
	v_max_f32_e32 v101, 0, v36
	v_cvt_f32_f16_sdwa v36, v61 dst_sel:DWORD dst_unused:UNUSED_PAD src0_sel:WORD_1
	v_cvt_f32_f16_e32 v47, v45
	v_cndmask_b32_e64 v77, 0, v89, s[2:3]
	v_cvt_f32_f16_e32 v64, v61
	v_add_f32_e32 v26, v26, v36
	v_max_f32_e32 v71, 0, v26
	v_or_b32_e32 v26, 64, v31
	v_cmp_gt_i32_e64 s[2:3], s29, v26
	s_and_b64 s[4:5], s[2:3], vcc
	v_cvt_f32_f16_sdwa v36, v45 dst_sel:DWORD dst_unused:UNUSED_PAD src0_sel:WORD_1
	v_add_f32_e32 v35, v35, v47
	s_and_b64 s[2:3], s[2:3], s[0:1]
	v_add_f32_e32 v27, v27, v64
	v_add_f32_e32 v28, v28, v36
	s_waitcnt vmcnt(7)
	v_cndmask_b32_e64 v45, 0, v48, s[4:5]
	v_cvt_f32_f16_e32 v47, v45
	v_max_f32_e32 v102, 0, v28
	v_max_f32_e32 v89, 0, v35
	s_waitcnt vmcnt(6)
	v_cndmask_b32_e64 v35, 0, v91, s[2:3]
	v_add_f32_e32 v28, v29, v47
	v_cvt_f32_f16_sdwa v29, v45 dst_sel:DWORD dst_unused:UNUSED_PAD src0_sel:WORD_1
	v_cndmask_b32_e64 v36, 0, v90, s[2:3]
	v_max_f32_e32 v70, 0, v27
	v_cndmask_b32_e64 v27, 0, v49, s[4:5]
	v_add_f32_e32 v29, v30, v29
	v_add_u32_e32 v30, 0x41, v31
	v_cmp_gt_i32_e64 s[2:3], s29, v30
	s_and_b64 s[4:5], s[2:3], vcc
	v_cvt_f32_f16_e32 v45, v36
	v_cvt_f32_f16_sdwa v48, v36 dst_sel:DWORD dst_unused:UNUSED_PAD src0_sel:WORD_1
	s_and_b64 s[2:3], s[2:3], s[0:1]
	s_waitcnt vmcnt(5)
	v_cndmask_b32_e64 v49, 0, v92, s[4:5]
	v_cvt_f32_f16_e32 v61, v49
	v_add_f32_e32 v47, v98, v45
	v_add_f32_e32 v37, v37, v48
	v_cvt_f32_f16_sdwa v48, v49 dst_sel:DWORD dst_unused:UNUSED_PAD src0_sel:WORD_1
	v_max_f32_e32 v36, 0, v47
	v_add_f32_e32 v47, v42, v61
	v_cndmask_b32_e64 v45, 0, v93, s[4:5]
	v_add_f32_e32 v43, v43, v48
	v_max_f32_e32 v48, 0, v43
	s_waitcnt vmcnt(4)
	v_cndmask_b32_e64 v49, 0, v94, s[2:3]
	v_cvt_f32_f16_e32 v61, v49
	v_cndmask_b32_e64 v42, 0, v95, s[2:3]
	v_max_f32_e32 v47, 0, v47
	v_max_f32_e32 v37, 0, v37
	v_add_f32_e32 v43, v46, v61
	v_cvt_f32_f16_sdwa v61, v49 dst_sel:DWORD dst_unused:UNUSED_PAD src0_sel:WORD_1
	v_add_u32_e32 v46, 0x42, v31
	v_cmp_gt_i32_e64 s[2:3], s29, v46
	s_and_b64 s[4:5], s[2:3], vcc
	s_and_b64 s[2:3], s[2:3], s[0:1]
	v_add_f32_e32 v44, v44, v61
	v_max_f32_e32 v43, 0, v43
	v_max_f32_e32 v44, 0, v44
	;; [unrolled: 1-line block ×4, first 2 shown]
	s_waitcnt vmcnt(3)
	v_cndmask_b32_e64 v64, 0, v96, s[4:5]
	v_cvt_f32_f16_e32 v90, v64
	v_cvt_f32_f16_sdwa v64, v64 dst_sel:DWORD dst_unused:UNUSED_PAD src0_sel:WORD_1
	s_waitcnt vmcnt(2)
	v_cndmask_b32_e64 v83, 0, v83, s[2:3]
	v_cndmask_b32_e64 v61, 0, v84, s[2:3]
	v_cvt_f32_f16_e32 v84, v83
	v_add_f32_e32 v51, v51, v64
	v_cvt_f32_f16_sdwa v83, v83 dst_sel:DWORD dst_unused:UNUSED_PAD src0_sel:WORD_1
	v_cndmask_b32_e64 v49, 0, v97, s[4:5]
	v_add_f32_e32 v64, v58, v84
	v_add_u32_e32 v58, 0x43, v31
	v_cmp_gt_i32_e64 s[2:3], s29, v58
	s_and_b64 vcc, s[2:3], vcc
	s_waitcnt vmcnt(1)
	v_cndmask_b32_e32 v85, 0, v85, vcc
	v_cndmask_b32_e32 v84, 0, v86, vcc
	v_cvt_f32_f16_e32 v86, v85
	v_cvt_f32_f16_sdwa v85, v85 dst_sel:DWORD dst_unused:UNUSED_PAD src0_sel:WORD_1
	s_and_b64 vcc, s[2:3], s[0:1]
	v_add_f32_e32 v66, v66, v83
	v_add_f32_e32 v56, v56, v86
	;; [unrolled: 1-line block ×3, first 2 shown]
	s_waitcnt vmcnt(0)
	v_cndmask_b32_e32 v86, 0, v87, vcc
	v_cvt_f32_f16_e32 v87, v86
	v_cvt_f32_f16_sdwa v85, v86 dst_sel:DWORD dst_unused:UNUSED_PAD src0_sel:WORD_1
	v_max_f32_e32 v86, 0, v60
	v_max_f32_e32 v83, 0, v56
	v_add_f32_e32 v60, v69, v87
	v_max_f32_e32 v87, 0, v60
	v_add_f32_e32 v60, v68, v85
	v_cvt_f32_f16_sdwa v68, v73 dst_sel:DWORD dst_unused:UNUSED_PAD src0_sel:WORD_1
	v_cvt_f32_f16_e32 v69, v73
	v_max_f32_e32 v85, 0, v60
	v_mul_lo_u32 v60, v31, s34
	v_add_f32_e32 v41, v41, v68
	v_add_f32_e32 v40, v40, v69
	v_max_f32_e32 v40, 0, v40
	v_max_f32_e32 v41, 0, v41
	v_cvt_f16_f32_e32 v73, v75
	v_cvt_f16_f32_e32 v75, v80
	;; [unrolled: 1-line block ×4, first 2 shown]
	v_mad_u64_u32 v[40:41], s[0:1], v34, s35, v[60:61]
	v_cndmask_b32_e32 v56, 0, v88, vcc
	v_cmp_gt_i32_e32 vcc, s31, v34
	v_cmp_gt_i32_e64 s[2:3], s16, v31
	v_bfrev_b32_e32 v31, 1
	s_and_b64 s[0:1], s[2:3], vcc
	v_cndmask_b32_e64 v34, v31, 0, s[0:1]
	v_pack_b32_f16 v68, v73, v75
	v_pack_b32_f16 v69, v80, v69
	v_lshl_add_u32 v34, v40, 1, v34
	buffer_store_dwordx2 v[68:69], v34, s[8:11], 0 offen
	v_cvt_f32_f16_sdwa v34, v63 dst_sel:DWORD dst_unused:UNUSED_PAD src0_sel:WORD_1
	v_cvt_f32_f16_e32 v41, v63
	v_cvt_f16_f32_e32 v60, v74
	v_cvt_f16_f32_e32 v63, v81
	v_add_f32_e32 v34, v39, v34
	v_add_f32_e32 v38, v38, v41
	v_max_f32_e32 v38, 0, v38
	v_max_f32_e32 v34, 0, v34
	v_cvt_f16_f32_e32 v34, v34
	v_cvt_f16_f32_e32 v39, v38
	v_pack_b32_f16 v38, v60, v63
	v_cmp_gt_i32_e64 s[0:1], s31, v52
	v_cvt_f32_f16_sdwa v52, v76 dst_sel:DWORD dst_unused:UNUSED_PAD src0_sel:WORD_1
	v_cvt_f32_f16_e32 v60, v76
	s_lshl_b32 s4, s35, 6
	s_and_b64 s[2:3], s[2:3], s[0:1]
	v_add_u32_e32 v41, s4, v40
	v_pack_b32_f16 v39, v39, v34
	v_cndmask_b32_e64 v34, v31, 0, s[2:3]
	v_lshl_add_u32 v34, v41, 1, v34
	v_add_f32_e32 v33, v33, v52
	v_add_f32_e32 v32, v32, v60
	buffer_store_dwordx2 v[38:39], v34, s[8:11], 0 offen
	v_add_u32_e32 v34, s34, v41
	v_cvt_f32_f16_sdwa v39, v54 dst_sel:DWORD dst_unused:UNUSED_PAD src0_sel:WORD_1
	v_cvt_f32_f16_e32 v41, v54
	v_max_f32_e32 v32, 0, v32
	v_max_f32_e32 v33, 0, v33
	v_cvt_f16_f32_e32 v33, v33
	v_cvt_f16_f32_e32 v52, v32
	;; [unrolled: 1-line block ×4, first 2 shown]
	v_add_f32_e32 v25, v25, v39
	v_add_f32_e32 v24, v24, v41
	v_cmp_gt_i32_e64 s[2:3], s16, v59
	v_max_f32_e32 v24, 0, v24
	v_max_f32_e32 v25, 0, v25
	v_pack_b32_f16 v33, v52, v33
	s_and_b64 s[6:7], s[2:3], s[0:1]
	v_cvt_f16_f32_e32 v52, v62
	v_cvt_f16_f32_e32 v54, v72
	;; [unrolled: 1-line block ×4, first 2 shown]
	v_cndmask_b32_e64 v38, v31, 0, s[6:7]
	v_pack_b32_f16 v32, v63, v68
	v_lshl_add_u32 v38, v34, 1, v38
	s_and_b64 s[2:3], s[2:3], vcc
	buffer_store_dwordx2 v[32:33], v38, s[8:11], 0 offen
	v_add_u32_e32 v32, s34, v40
	v_cndmask_b32_e64 v33, v31, 0, s[2:3]
	v_cmp_gt_i32_e64 s[2:3], s16, v55
	v_pack_b32_f16 v24, v52, v54
	v_pack_b32_f16 v25, v39, v25
	v_lshl_add_u32 v33, v32, 1, v33
	s_and_b64 s[6:7], s[2:3], vcc
	v_cvt_f32_f16_sdwa v38, v67 dst_sel:DWORD dst_unused:UNUSED_PAD src0_sel:WORD_1
	v_cvt_f32_f16_e32 v39, v67
	buffer_store_dwordx2 v[24:25], v33, s[8:11], 0 offen
	v_add_u32_e32 v24, s34, v32
	v_cndmask_b32_e64 v25, v31, 0, s[6:7]
	v_lshl_add_u32 v24, v24, 1, v25
	v_cvt_f32_f16_sdwa v25, v65 dst_sel:DWORD dst_unused:UNUSED_PAD src0_sel:WORD_1
	v_cvt_f32_f16_e32 v32, v65
	v_add_f32_e32 v19, v19, v38
	v_add_f32_e32 v18, v18, v39
	v_max_f32_e32 v18, 0, v18
	v_max_f32_e32 v19, 0, v19
	v_add_f32_e32 v23, v23, v25
	v_add_f32_e32 v22, v22, v32
	v_cvt_f16_f32_e32 v40, v78
	v_cvt_f16_f32_e32 v41, v79
	;; [unrolled: 1-line block ×4, first 2 shown]
	v_max_f32_e32 v22, 0, v22
	v_max_f32_e32 v23, 0, v23
	v_cvt_f16_f32_e32 v23, v23
	v_cvt_f16_f32_e32 v22, v22
	v_pack_b32_f16 v18, v40, v41
	v_pack_b32_f16 v19, v38, v19
	buffer_store_dwordx2 v[18:19], v24, s[8:11], 0 offen
	v_pack_b32_f16 v19, v22, v23
	v_cvt_f32_f16_sdwa v23, v77 dst_sel:DWORD dst_unused:UNUSED_PAD src0_sel:WORD_1
	v_cvt_f32_f16_e32 v25, v77
	v_cvt_f16_f32_e32 v33, v82
	v_cvt_f16_f32_e32 v38, v101
	v_add_f32_e32 v17, v17, v23
	v_add_f32_e32 v16, v16, v25
	v_max_f32_e32 v16, 0, v16
	v_max_f32_e32 v17, 0, v17
	v_cvt_f16_f32_e32 v17, v17
	v_cvt_f16_f32_e32 v23, v16
	s_and_b64 s[2:3], s[2:3], s[0:1]
	v_add_u32_e32 v24, s34, v34
	v_cndmask_b32_e64 v22, v31, 0, s[2:3]
	v_pack_b32_f16 v18, v33, v38
	v_lshl_add_u32 v22, v24, 1, v22
	buffer_store_dwordx2 v[18:19], v22, s[8:11], 0 offen
	v_pack_b32_f16 v17, v23, v17
	v_cvt_f32_f16_sdwa v22, v53 dst_sel:DWORD dst_unused:UNUSED_PAD src0_sel:WORD_1
	v_cvt_f32_f16_e32 v23, v53
	v_cvt_f16_f32_e32 v32, v89
	v_cvt_f16_f32_e32 v33, v102
	v_add_f32_e32 v11, v11, v22
	v_add_f32_e32 v10, v10, v23
	v_cmp_gt_i32_e64 s[2:3], s16, v57
	v_max_f32_e32 v10, 0, v10
	v_max_f32_e32 v11, 0, v11
	v_pack_b32_f16 v16, v32, v33
	s_and_b64 s[6:7], s[2:3], s[0:1]
	v_cvt_f16_f32_e32 v25, v70
	v_cvt_f16_f32_e32 v32, v71
	;; [unrolled: 1-line block ×4, first 2 shown]
	v_add_u32_e32 v18, s34, v24
	v_cndmask_b32_e64 v19, v31, 0, s[6:7]
	v_lshl_add_u32 v19, v18, 1, v19
	s_and_b64 s[2:3], s[2:3], vcc
	buffer_store_dwordx2 v[16:17], v19, s[8:11], 0 offen
	v_subrev_u32_e32 v16, s4, v18
	v_cndmask_b32_e64 v17, v31, 0, s[2:3]
	v_pack_b32_f16 v10, v25, v32
	v_pack_b32_f16 v11, v22, v11
	v_lshl_add_u32 v17, v16, 1, v17
	buffer_store_dwordx2 v[10:11], v17, s[8:11], 0 offen
	v_cvt_f32_f16_e32 v10, v84
	v_cvt_f32_f16_sdwa v11, v84 dst_sel:DWORD dst_unused:UNUSED_PAD src0_sel:WORD_1
	v_cmp_gt_i32_e64 s[2:3], s16, v58
	s_lshl_b32 s5, s34, 6
	v_add_f32_e32 v10, v14, v10
	v_add_f32_e32 v11, v15, v11
	v_max_f32_e32 v11, 0, v11
	v_max_f32_e32 v10, 0, v10
	v_cvt_f16_f32_e32 v14, v10
	v_cvt_f16_f32_e32 v11, v11
	s_and_b64 s[6:7], s[2:3], vcc
	v_add_u32_e32 v15, s5, v16
	v_cvt_f32_f16_sdwa v16, v56 dst_sel:DWORD dst_unused:UNUSED_PAD src0_sel:WORD_1
	v_pack_b32_f16 v11, v14, v11
	v_cndmask_b32_e64 v14, v31, 0, s[6:7]
	v_lshl_add_u32 v14, v15, 1, v14
	v_cvt_f32_f16_e32 v15, v56
	v_add_f32_e32 v16, v21, v16
	v_cvt_f16_f32_e32 v17, v83
	v_cvt_f16_f32_e32 v19, v86
	v_add_f32_e32 v15, v20, v15
	v_max_f32_e32 v16, 0, v16
	v_max_f32_e32 v15, 0, v15
	v_cvt_f16_f32_e32 v15, v15
	v_cvt_f16_f32_e32 v16, v16
	v_pack_b32_f16 v10, v17, v19
	s_and_b64 s[2:3], s[2:3], s[0:1]
	buffer_store_dwordx2 v[10:11], v14, s[8:11], 0 offen
	v_add_u32_e32 v14, s5, v18
	v_pack_b32_f16 v11, v15, v16
	v_cndmask_b32_e64 v15, v31, 0, s[2:3]
	v_lshl_add_u32 v14, v14, 1, v15
	v_cvt_f32_f16_sdwa v15, v61 dst_sel:DWORD dst_unused:UNUSED_PAD src0_sel:WORD_1
	v_cvt_f32_f16_e32 v16, v61
	v_cvt_f16_f32_e32 v17, v87
	v_cvt_f16_f32_e32 v19, v85
	v_add_f32_e32 v13, v13, v15
	v_add_f32_e32 v12, v12, v16
	v_max_f32_e32 v12, 0, v12
	v_max_f32_e32 v13, 0, v13
	v_cvt_f16_f32_e32 v13, v13
	v_cvt_f16_f32_e32 v12, v12
	v_pack_b32_f16 v10, v17, v19
	buffer_store_dwordx2 v[10:11], v14, s[8:11], 0 offen
	v_cvt_f32_f16_e32 v15, v49
	v_pack_b32_f16 v11, v12, v13
	v_cvt_f32_f16_sdwa v13, v49 dst_sel:DWORD dst_unused:UNUSED_PAD src0_sel:WORD_1
	v_max_f32_e32 v64, 0, v64
	v_max_f32_e32 v66, 0, v66
	v_cvt_f16_f32_e32 v17, v64
	v_cvt_f16_f32_e32 v18, v66
	v_add_f32_e32 v50, v50, v90
	v_add_f32_e32 v9, v9, v13
	;; [unrolled: 1-line block ×3, first 2 shown]
	v_max_f32_e32 v50, 0, v50
	v_max_f32_e32 v51, 0, v51
	v_cmp_ge_i32_e64 s[2:3], s16, v58
	v_max_f32_e32 v8, 0, v8
	v_max_f32_e32 v9, 0, v9
	v_pack_b32_f16 v10, v17, v18
	s_and_b64 s[2:3], s[2:3], s[0:1]
	v_cvt_f16_f32_e32 v16, v50
	v_cvt_f16_f32_e32 v17, v51
	;; [unrolled: 1-line block ×4, first 2 shown]
	v_add_u32_e32 v14, s5, v24
	v_cndmask_b32_e64 v12, v31, 0, s[2:3]
	v_cmp_gt_i32_e64 s[2:3], s16, v46
	v_lshl_add_u32 v12, v14, 1, v12
	s_and_b64 s[2:3], s[2:3], vcc
	buffer_store_dwordx2 v[10:11], v12, s[8:11], 0 offen
	v_subrev_u32_e32 v10, s4, v14
	v_cndmask_b32_e64 v11, v31, 0, s[2:3]
	v_pack_b32_f16 v8, v16, v17
	v_pack_b32_f16 v9, v13, v9
	v_lshl_add_u32 v11, v10, 1, v11
	v_cvt_f32_f16_sdwa v12, v45 dst_sel:DWORD dst_unused:UNUSED_PAD src0_sel:WORD_1
	v_cvt_f32_f16_e32 v13, v45
	buffer_store_dwordx2 v[8:9], v11, s[8:11], 0 offen
	v_subrev_u32_e32 v8, s34, v10
	v_cvt_f32_f16_sdwa v10, v42 dst_sel:DWORD dst_unused:UNUSED_PAD src0_sel:WORD_1
	v_cvt_f32_f16_e32 v11, v42
	v_add_f32_e32 v5, v5, v12
	v_add_f32_e32 v4, v4, v13
	v_max_f32_e32 v4, 0, v4
	v_max_f32_e32 v5, 0, v5
	v_add_f32_e32 v7, v7, v10
	v_add_f32_e32 v6, v6, v11
	v_cvt_f16_f32_e32 v14, v47
	v_cvt_f16_f32_e32 v15, v48
	;; [unrolled: 1-line block ×4, first 2 shown]
	v_max_f32_e32 v6, 0, v6
	v_max_f32_e32 v7, 0, v7
	v_cmp_ge_i32_e64 s[2:3], s16, v46
	v_cvt_f16_f32_e32 v7, v7
	v_cvt_f16_f32_e32 v6, v6
	s_and_b64 s[2:3], s[2:3], vcc
	v_cndmask_b32_e64 v9, v31, 0, s[2:3]
	v_pack_b32_f16 v4, v14, v15
	v_pack_b32_f16 v5, v12, v5
	v_lshl_add_u32 v9, v8, 1, v9
	buffer_store_dwordx2 v[4:5], v9, s[8:11], 0 offen
	v_pack_b32_f16 v5, v6, v7
	v_cvt_f32_f16_sdwa v7, v35 dst_sel:DWORD dst_unused:UNUSED_PAD src0_sel:WORD_1
	v_cvt_f32_f16_e32 v9, v35
	v_cvt_f16_f32_e32 v12, v43
	v_cvt_f16_f32_e32 v13, v44
	v_add_f32_e32 v3, v3, v7
	v_add_f32_e32 v2, v2, v9
	v_max_f32_e32 v2, 0, v2
	v_max_f32_e32 v3, 0, v3
	v_cmp_gt_i32_e64 s[2:3], s16, v30
	v_cvt_f16_f32_e32 v3, v3
	v_cvt_f16_f32_e32 v7, v2
	s_and_b64 s[2:3], s[2:3], s[0:1]
	v_add_u32_e32 v8, s4, v8
	v_cndmask_b32_e64 v6, v31, 0, s[2:3]
	v_pack_b32_f16 v4, v12, v13
	v_lshl_add_u32 v6, v8, 1, v6
	buffer_store_dwordx2 v[4:5], v6, s[8:11], 0 offen
	v_pack_b32_f16 v3, v7, v3
	v_cvt_f32_f16_sdwa v6, v27 dst_sel:DWORD dst_unused:UNUSED_PAD src0_sel:WORD_1
	v_cvt_f32_f16_e32 v7, v27
	v_cvt_f16_f32_e32 v10, v36
	v_cvt_f16_f32_e32 v11, v37
	v_add_f32_e32 v1, v1, v6
	v_add_f32_e32 v0, v0, v7
	v_cmp_ge_i32_e64 s[2:3], s16, v30
	v_max_f32_e32 v0, 0, v0
	v_max_f32_e32 v1, 0, v1
	v_subrev_u32_e32 v4, s34, v8
	s_and_b64 s[0:1], s[2:3], s[0:1]
	v_cvt_f16_f32_e32 v8, v28
	v_cvt_f16_f32_e32 v9, v29
	;; [unrolled: 1-line block ×4, first 2 shown]
	v_cndmask_b32_e64 v5, v31, 0, s[0:1]
	v_cmp_gt_i32_e64 s[0:1], s16, v26
	v_pack_b32_f16 v2, v10, v11
	v_lshl_add_u32 v5, v4, 1, v5
	s_and_b64 s[0:1], s[0:1], vcc
	buffer_store_dwordx2 v[2:3], v5, s[8:11], 0 offen
	v_subrev_u32_e32 v2, s4, v4
	v_cndmask_b32_e64 v3, v31, 0, s[0:1]
	v_pack_b32_f16 v0, v8, v9
	v_pack_b32_f16 v1, v6, v1
	v_lshl_add_u32 v2, v2, 1, v3
	buffer_store_dwordx2 v[0:1], v2, s[8:11], 0 offen
	s_endpgm
	.section	.rodata,"a",@progbits
	.p2align	6, 0x0
	.amdhsa_kernel _ZN2ck16tensor_operation6device12_GLOBAL__N_137kernel_grouped_conv_fwd_dl_multiple_dINS_32GridwiseGemmDlMultipleD_km_kn_mnILi256EDF16_fNS_5TupleIJDF16_EEEDF16_NS0_12element_wise11PassThroughES8_NS7_7AddReluELNS_25InMemoryDataOperationEnumE0ENS_16TensorDescriptorINS5_IJNS_5EmbedINS5_IJiiiiEEESD_Lb0EEENS_11PassThroughIiEENS_3PadIiiiLb0EEESI_SG_SG_NSC_INS5_IJiiEEESJ_Lb0EEESK_SG_NS_23Merge_v2_magic_divisionINS5_IJiiiEEEEESN_NS_8RightPadIiiLb0EEESP_NS_7UnMergeISJ_Lb0EEESG_EEENS5_IJNS_8SequenceIJLi0EEEENST_IJLi1EEEENST_IJLi2EEEENST_IJLi3EEEENST_IJLi4EEEENST_IJLi5EEEENST_IJLi6EEEENST_IJLi7EEEENST_IJLi8EEEENST_IJLi9ELi11ELi13EEEENST_IJLi10ELi12ELi14EEEENST_IJLi15EEEENST_IJLi16EEEENST_IJLi18EEEENST_IJLi17EEEEEEENS5_IJNST_IJLi1ELi2ELi3ELi4EEEESZ_S10_S11_S12_NST_IJLi9EEEENST_IJLi10ELi11EEEENST_IJLi12ELi13EEEENST_IJLi14EEEES15_S16_S18_S17_NST_IJLi19ELi20EEEENST_IJLi21EEEEEEENST_IJLi19ELi21ELi20EEEElEENSB_INS5_IJSR_SP_SP_SR_SG_EEENS5_IJSU_SV_SW_SY_SX_EEENS5_IJNST_IJLi1ELi2EEEESX_SY_NST_IJLi5ELi6EEEES11_EEENST_IJLi5ELi7ELi6EEEElEENSB_INS5_IJSK_SP_SP_EEENS5_IJSU_SV_SW_EEENS5_IJS1M_SX_SY_EEENST_IJLi3ELi4EEEElEELi128ELi128ELi16ELi2ELi4ELi4ELi1ENST_IJLi8ELi2EEEES1W_NST_IJLi8ELi1ELi1ELi2EEEENST_IJLi2ELi1ELi128ELi1EEEENST_IJLi1ELi2ELi0ELi3EEEES1Z_NST_IJLi4ELi1ELi1ELi2EEEES1Z_NST_IJLi1ELi1ELi1ELi2EEEES1X_S1Y_S1Z_S1Z_S20_S1Z_S21_NST_IJLi0ELi1ELi2ELi3ELi4ELi5EEEELi5ELi4EEEDF16_NS5_IJPKDF16_EEEDF16_S8_S8_S9_NSB_INS5_IJSE_SG_SI_SI_SG_SG_SK_SK_SG_SN_SN_SP_SP_SR_SG_SG_NSQ_INS5_IJiNS_17integral_constantIiLi128EEEEEELb0EEENSF_INS27_IiLi2EEEEEEEENS5_IJSU_SV_SW_SX_SY_SZ_S10_S11_S12_S13_S14_S15_S16_S17_S18_NST_IJLi19EEEES1G_NST_IJLi20EEEEEEENS5_IJS1A_SZ_S10_S11_S12_S1B_S1C_S1D_S1E_S15_S16_S18_S17_S1F_S1G_NST_IJLi22EEEENST_IJLi23ELi24EEEENST_IJLi25EEEEEEENST_IJLi22ELi23ELi24ELi25EEEElEENSB_INS5_IJSR_SP_SP_SR_SG_SG_S2A_S2C_EEENS5_IJSU_SV_SW_SY_SX_SZ_S11_S10_EEENS5_IJS1M_SX_SY_S1N_S11_S12_NST_IJLi9ELi10EEEENST_IJLi11EEEEEEENST_IJLi8ELi9ELi10ELi11EEEElEENS5_IJNSB_INS5_IJSK_SP_SP_NSQ_INS5_IJiS2B_NS27_IiLi64EEEEEELb0EEES2W_EEENS5_IJSU_SV_SW_SX_SY_EEENS5_IJS1M_SX_SY_NST_IJLi5ELi6ELi7EEEENST_IJLi8ELi9ELi10EEEEEEENST_IJLi5ELi6ELi7ELi8ELi9ELi10EEEElEEEEES33_NS_31BlockToCTileMap_M00_N00_M01_N01ILi128ELi128ES1V_Lb0EEENS1_30ComputePtrOffsetOfStridedBatchILi1ELi1ELi1EvEELb1ELb0EEEvPKT0_S3B_T1_PT2_T3_T4_T5_iT6_T7_T8_T9_T10_T11_
		.amdhsa_group_segment_fixed_size 32768
		.amdhsa_private_segment_fixed_size 132
		.amdhsa_kernarg_size 968
		.amdhsa_user_sgpr_count 6
		.amdhsa_user_sgpr_private_segment_buffer 1
		.amdhsa_user_sgpr_dispatch_ptr 0
		.amdhsa_user_sgpr_queue_ptr 0
		.amdhsa_user_sgpr_kernarg_segment_ptr 1
		.amdhsa_user_sgpr_dispatch_id 0
		.amdhsa_user_sgpr_flat_scratch_init 0
		.amdhsa_user_sgpr_private_segment_size 0
		.amdhsa_uses_dynamic_stack 0
		.amdhsa_system_sgpr_private_segment_wavefront_offset 1
		.amdhsa_system_sgpr_workgroup_id_x 1
		.amdhsa_system_sgpr_workgroup_id_y 0
		.amdhsa_system_sgpr_workgroup_id_z 0
		.amdhsa_system_sgpr_workgroup_info 0
		.amdhsa_system_vgpr_workitem_id 0
		.amdhsa_next_free_vgpr 128
		.amdhsa_next_free_sgpr 98
		.amdhsa_reserve_vcc 1
		.amdhsa_reserve_flat_scratch 0
		.amdhsa_float_round_mode_32 0
		.amdhsa_float_round_mode_16_64 0
		.amdhsa_float_denorm_mode_32 3
		.amdhsa_float_denorm_mode_16_64 3
		.amdhsa_dx10_clamp 1
		.amdhsa_ieee_mode 1
		.amdhsa_fp16_overflow 0
		.amdhsa_exception_fp_ieee_invalid_op 0
		.amdhsa_exception_fp_denorm_src 0
		.amdhsa_exception_fp_ieee_div_zero 0
		.amdhsa_exception_fp_ieee_overflow 0
		.amdhsa_exception_fp_ieee_underflow 0
		.amdhsa_exception_fp_ieee_inexact 0
		.amdhsa_exception_int_div_zero 0
	.end_amdhsa_kernel
	.section	.text._ZN2ck16tensor_operation6device12_GLOBAL__N_137kernel_grouped_conv_fwd_dl_multiple_dINS_32GridwiseGemmDlMultipleD_km_kn_mnILi256EDF16_fNS_5TupleIJDF16_EEEDF16_NS0_12element_wise11PassThroughES8_NS7_7AddReluELNS_25InMemoryDataOperationEnumE0ENS_16TensorDescriptorINS5_IJNS_5EmbedINS5_IJiiiiEEESD_Lb0EEENS_11PassThroughIiEENS_3PadIiiiLb0EEESI_SG_SG_NSC_INS5_IJiiEEESJ_Lb0EEESK_SG_NS_23Merge_v2_magic_divisionINS5_IJiiiEEEEESN_NS_8RightPadIiiLb0EEESP_NS_7UnMergeISJ_Lb0EEESG_EEENS5_IJNS_8SequenceIJLi0EEEENST_IJLi1EEEENST_IJLi2EEEENST_IJLi3EEEENST_IJLi4EEEENST_IJLi5EEEENST_IJLi6EEEENST_IJLi7EEEENST_IJLi8EEEENST_IJLi9ELi11ELi13EEEENST_IJLi10ELi12ELi14EEEENST_IJLi15EEEENST_IJLi16EEEENST_IJLi18EEEENST_IJLi17EEEEEEENS5_IJNST_IJLi1ELi2ELi3ELi4EEEESZ_S10_S11_S12_NST_IJLi9EEEENST_IJLi10ELi11EEEENST_IJLi12ELi13EEEENST_IJLi14EEEES15_S16_S18_S17_NST_IJLi19ELi20EEEENST_IJLi21EEEEEEENST_IJLi19ELi21ELi20EEEElEENSB_INS5_IJSR_SP_SP_SR_SG_EEENS5_IJSU_SV_SW_SY_SX_EEENS5_IJNST_IJLi1ELi2EEEESX_SY_NST_IJLi5ELi6EEEES11_EEENST_IJLi5ELi7ELi6EEEElEENSB_INS5_IJSK_SP_SP_EEENS5_IJSU_SV_SW_EEENS5_IJS1M_SX_SY_EEENST_IJLi3ELi4EEEElEELi128ELi128ELi16ELi2ELi4ELi4ELi1ENST_IJLi8ELi2EEEES1W_NST_IJLi8ELi1ELi1ELi2EEEENST_IJLi2ELi1ELi128ELi1EEEENST_IJLi1ELi2ELi0ELi3EEEES1Z_NST_IJLi4ELi1ELi1ELi2EEEES1Z_NST_IJLi1ELi1ELi1ELi2EEEES1X_S1Y_S1Z_S1Z_S20_S1Z_S21_NST_IJLi0ELi1ELi2ELi3ELi4ELi5EEEELi5ELi4EEEDF16_NS5_IJPKDF16_EEEDF16_S8_S8_S9_NSB_INS5_IJSE_SG_SI_SI_SG_SG_SK_SK_SG_SN_SN_SP_SP_SR_SG_SG_NSQ_INS5_IJiNS_17integral_constantIiLi128EEEEEELb0EEENSF_INS27_IiLi2EEEEEEEENS5_IJSU_SV_SW_SX_SY_SZ_S10_S11_S12_S13_S14_S15_S16_S17_S18_NST_IJLi19EEEES1G_NST_IJLi20EEEEEEENS5_IJS1A_SZ_S10_S11_S12_S1B_S1C_S1D_S1E_S15_S16_S18_S17_S1F_S1G_NST_IJLi22EEEENST_IJLi23ELi24EEEENST_IJLi25EEEEEEENST_IJLi22ELi23ELi24ELi25EEEElEENSB_INS5_IJSR_SP_SP_SR_SG_SG_S2A_S2C_EEENS5_IJSU_SV_SW_SY_SX_SZ_S11_S10_EEENS5_IJS1M_SX_SY_S1N_S11_S12_NST_IJLi9ELi10EEEENST_IJLi11EEEEEEENST_IJLi8ELi9ELi10ELi11EEEElEENS5_IJNSB_INS5_IJSK_SP_SP_NSQ_INS5_IJiS2B_NS27_IiLi64EEEEEELb0EEES2W_EEENS5_IJSU_SV_SW_SX_SY_EEENS5_IJS1M_SX_SY_NST_IJLi5ELi6ELi7EEEENST_IJLi8ELi9ELi10EEEEEEENST_IJLi5ELi6ELi7ELi8ELi9ELi10EEEElEEEEES33_NS_31BlockToCTileMap_M00_N00_M01_N01ILi128ELi128ES1V_Lb0EEENS1_30ComputePtrOffsetOfStridedBatchILi1ELi1ELi1EvEELb1ELb0EEEvPKT0_S3B_T1_PT2_T3_T4_T5_iT6_T7_T8_T9_T10_T11_,"axG",@progbits,_ZN2ck16tensor_operation6device12_GLOBAL__N_137kernel_grouped_conv_fwd_dl_multiple_dINS_32GridwiseGemmDlMultipleD_km_kn_mnILi256EDF16_fNS_5TupleIJDF16_EEEDF16_NS0_12element_wise11PassThroughES8_NS7_7AddReluELNS_25InMemoryDataOperationEnumE0ENS_16TensorDescriptorINS5_IJNS_5EmbedINS5_IJiiiiEEESD_Lb0EEENS_11PassThroughIiEENS_3PadIiiiLb0EEESI_SG_SG_NSC_INS5_IJiiEEESJ_Lb0EEESK_SG_NS_23Merge_v2_magic_divisionINS5_IJiiiEEEEESN_NS_8RightPadIiiLb0EEESP_NS_7UnMergeISJ_Lb0EEESG_EEENS5_IJNS_8SequenceIJLi0EEEENST_IJLi1EEEENST_IJLi2EEEENST_IJLi3EEEENST_IJLi4EEEENST_IJLi5EEEENST_IJLi6EEEENST_IJLi7EEEENST_IJLi8EEEENST_IJLi9ELi11ELi13EEEENST_IJLi10ELi12ELi14EEEENST_IJLi15EEEENST_IJLi16EEEENST_IJLi18EEEENST_IJLi17EEEEEEENS5_IJNST_IJLi1ELi2ELi3ELi4EEEESZ_S10_S11_S12_NST_IJLi9EEEENST_IJLi10ELi11EEEENST_IJLi12ELi13EEEENST_IJLi14EEEES15_S16_S18_S17_NST_IJLi19ELi20EEEENST_IJLi21EEEEEEENST_IJLi19ELi21ELi20EEEElEENSB_INS5_IJSR_SP_SP_SR_SG_EEENS5_IJSU_SV_SW_SY_SX_EEENS5_IJNST_IJLi1ELi2EEEESX_SY_NST_IJLi5ELi6EEEES11_EEENST_IJLi5ELi7ELi6EEEElEENSB_INS5_IJSK_SP_SP_EEENS5_IJSU_SV_SW_EEENS5_IJS1M_SX_SY_EEENST_IJLi3ELi4EEEElEELi128ELi128ELi16ELi2ELi4ELi4ELi1ENST_IJLi8ELi2EEEES1W_NST_IJLi8ELi1ELi1ELi2EEEENST_IJLi2ELi1ELi128ELi1EEEENST_IJLi1ELi2ELi0ELi3EEEES1Z_NST_IJLi4ELi1ELi1ELi2EEEES1Z_NST_IJLi1ELi1ELi1ELi2EEEES1X_S1Y_S1Z_S1Z_S20_S1Z_S21_NST_IJLi0ELi1ELi2ELi3ELi4ELi5EEEELi5ELi4EEEDF16_NS5_IJPKDF16_EEEDF16_S8_S8_S9_NSB_INS5_IJSE_SG_SI_SI_SG_SG_SK_SK_SG_SN_SN_SP_SP_SR_SG_SG_NSQ_INS5_IJiNS_17integral_constantIiLi128EEEEEELb0EEENSF_INS27_IiLi2EEEEEEEENS5_IJSU_SV_SW_SX_SY_SZ_S10_S11_S12_S13_S14_S15_S16_S17_S18_NST_IJLi19EEEES1G_NST_IJLi20EEEEEEENS5_IJS1A_SZ_S10_S11_S12_S1B_S1C_S1D_S1E_S15_S16_S18_S17_S1F_S1G_NST_IJLi22EEEENST_IJLi23ELi24EEEENST_IJLi25EEEEEEENST_IJLi22ELi23ELi24ELi25EEEElEENSB_INS5_IJSR_SP_SP_SR_SG_SG_S2A_S2C_EEENS5_IJSU_SV_SW_SY_SX_SZ_S11_S10_EEENS5_IJS1M_SX_SY_S1N_S11_S12_NST_IJLi9ELi10EEEENST_IJLi11EEEEEEENST_IJLi8ELi9ELi10ELi11EEEElEENS5_IJNSB_INS5_IJSK_SP_SP_NSQ_INS5_IJiS2B_NS27_IiLi64EEEEEELb0EEES2W_EEENS5_IJSU_SV_SW_SX_SY_EEENS5_IJS1M_SX_SY_NST_IJLi5ELi6ELi7EEEENST_IJLi8ELi9ELi10EEEEEEENST_IJLi5ELi6ELi7ELi8ELi9ELi10EEEElEEEEES33_NS_31BlockToCTileMap_M00_N00_M01_N01ILi128ELi128ES1V_Lb0EEENS1_30ComputePtrOffsetOfStridedBatchILi1ELi1ELi1EvEELb1ELb0EEEvPKT0_S3B_T1_PT2_T3_T4_T5_iT6_T7_T8_T9_T10_T11_,comdat
.Lfunc_end6:
	.size	_ZN2ck16tensor_operation6device12_GLOBAL__N_137kernel_grouped_conv_fwd_dl_multiple_dINS_32GridwiseGemmDlMultipleD_km_kn_mnILi256EDF16_fNS_5TupleIJDF16_EEEDF16_NS0_12element_wise11PassThroughES8_NS7_7AddReluELNS_25InMemoryDataOperationEnumE0ENS_16TensorDescriptorINS5_IJNS_5EmbedINS5_IJiiiiEEESD_Lb0EEENS_11PassThroughIiEENS_3PadIiiiLb0EEESI_SG_SG_NSC_INS5_IJiiEEESJ_Lb0EEESK_SG_NS_23Merge_v2_magic_divisionINS5_IJiiiEEEEESN_NS_8RightPadIiiLb0EEESP_NS_7UnMergeISJ_Lb0EEESG_EEENS5_IJNS_8SequenceIJLi0EEEENST_IJLi1EEEENST_IJLi2EEEENST_IJLi3EEEENST_IJLi4EEEENST_IJLi5EEEENST_IJLi6EEEENST_IJLi7EEEENST_IJLi8EEEENST_IJLi9ELi11ELi13EEEENST_IJLi10ELi12ELi14EEEENST_IJLi15EEEENST_IJLi16EEEENST_IJLi18EEEENST_IJLi17EEEEEEENS5_IJNST_IJLi1ELi2ELi3ELi4EEEESZ_S10_S11_S12_NST_IJLi9EEEENST_IJLi10ELi11EEEENST_IJLi12ELi13EEEENST_IJLi14EEEES15_S16_S18_S17_NST_IJLi19ELi20EEEENST_IJLi21EEEEEEENST_IJLi19ELi21ELi20EEEElEENSB_INS5_IJSR_SP_SP_SR_SG_EEENS5_IJSU_SV_SW_SY_SX_EEENS5_IJNST_IJLi1ELi2EEEESX_SY_NST_IJLi5ELi6EEEES11_EEENST_IJLi5ELi7ELi6EEEElEENSB_INS5_IJSK_SP_SP_EEENS5_IJSU_SV_SW_EEENS5_IJS1M_SX_SY_EEENST_IJLi3ELi4EEEElEELi128ELi128ELi16ELi2ELi4ELi4ELi1ENST_IJLi8ELi2EEEES1W_NST_IJLi8ELi1ELi1ELi2EEEENST_IJLi2ELi1ELi128ELi1EEEENST_IJLi1ELi2ELi0ELi3EEEES1Z_NST_IJLi4ELi1ELi1ELi2EEEES1Z_NST_IJLi1ELi1ELi1ELi2EEEES1X_S1Y_S1Z_S1Z_S20_S1Z_S21_NST_IJLi0ELi1ELi2ELi3ELi4ELi5EEEELi5ELi4EEEDF16_NS5_IJPKDF16_EEEDF16_S8_S8_S9_NSB_INS5_IJSE_SG_SI_SI_SG_SG_SK_SK_SG_SN_SN_SP_SP_SR_SG_SG_NSQ_INS5_IJiNS_17integral_constantIiLi128EEEEEELb0EEENSF_INS27_IiLi2EEEEEEEENS5_IJSU_SV_SW_SX_SY_SZ_S10_S11_S12_S13_S14_S15_S16_S17_S18_NST_IJLi19EEEES1G_NST_IJLi20EEEEEEENS5_IJS1A_SZ_S10_S11_S12_S1B_S1C_S1D_S1E_S15_S16_S18_S17_S1F_S1G_NST_IJLi22EEEENST_IJLi23ELi24EEEENST_IJLi25EEEEEEENST_IJLi22ELi23ELi24ELi25EEEElEENSB_INS5_IJSR_SP_SP_SR_SG_SG_S2A_S2C_EEENS5_IJSU_SV_SW_SY_SX_SZ_S11_S10_EEENS5_IJS1M_SX_SY_S1N_S11_S12_NST_IJLi9ELi10EEEENST_IJLi11EEEEEEENST_IJLi8ELi9ELi10ELi11EEEElEENS5_IJNSB_INS5_IJSK_SP_SP_NSQ_INS5_IJiS2B_NS27_IiLi64EEEEEELb0EEES2W_EEENS5_IJSU_SV_SW_SX_SY_EEENS5_IJS1M_SX_SY_NST_IJLi5ELi6ELi7EEEENST_IJLi8ELi9ELi10EEEEEEENST_IJLi5ELi6ELi7ELi8ELi9ELi10EEEElEEEEES33_NS_31BlockToCTileMap_M00_N00_M01_N01ILi128ELi128ES1V_Lb0EEENS1_30ComputePtrOffsetOfStridedBatchILi1ELi1ELi1EvEELb1ELb0EEEvPKT0_S3B_T1_PT2_T3_T4_T5_iT6_T7_T8_T9_T10_T11_, .Lfunc_end6-_ZN2ck16tensor_operation6device12_GLOBAL__N_137kernel_grouped_conv_fwd_dl_multiple_dINS_32GridwiseGemmDlMultipleD_km_kn_mnILi256EDF16_fNS_5TupleIJDF16_EEEDF16_NS0_12element_wise11PassThroughES8_NS7_7AddReluELNS_25InMemoryDataOperationEnumE0ENS_16TensorDescriptorINS5_IJNS_5EmbedINS5_IJiiiiEEESD_Lb0EEENS_11PassThroughIiEENS_3PadIiiiLb0EEESI_SG_SG_NSC_INS5_IJiiEEESJ_Lb0EEESK_SG_NS_23Merge_v2_magic_divisionINS5_IJiiiEEEEESN_NS_8RightPadIiiLb0EEESP_NS_7UnMergeISJ_Lb0EEESG_EEENS5_IJNS_8SequenceIJLi0EEEENST_IJLi1EEEENST_IJLi2EEEENST_IJLi3EEEENST_IJLi4EEEENST_IJLi5EEEENST_IJLi6EEEENST_IJLi7EEEENST_IJLi8EEEENST_IJLi9ELi11ELi13EEEENST_IJLi10ELi12ELi14EEEENST_IJLi15EEEENST_IJLi16EEEENST_IJLi18EEEENST_IJLi17EEEEEEENS5_IJNST_IJLi1ELi2ELi3ELi4EEEESZ_S10_S11_S12_NST_IJLi9EEEENST_IJLi10ELi11EEEENST_IJLi12ELi13EEEENST_IJLi14EEEES15_S16_S18_S17_NST_IJLi19ELi20EEEENST_IJLi21EEEEEEENST_IJLi19ELi21ELi20EEEElEENSB_INS5_IJSR_SP_SP_SR_SG_EEENS5_IJSU_SV_SW_SY_SX_EEENS5_IJNST_IJLi1ELi2EEEESX_SY_NST_IJLi5ELi6EEEES11_EEENST_IJLi5ELi7ELi6EEEElEENSB_INS5_IJSK_SP_SP_EEENS5_IJSU_SV_SW_EEENS5_IJS1M_SX_SY_EEENST_IJLi3ELi4EEEElEELi128ELi128ELi16ELi2ELi4ELi4ELi1ENST_IJLi8ELi2EEEES1W_NST_IJLi8ELi1ELi1ELi2EEEENST_IJLi2ELi1ELi128ELi1EEEENST_IJLi1ELi2ELi0ELi3EEEES1Z_NST_IJLi4ELi1ELi1ELi2EEEES1Z_NST_IJLi1ELi1ELi1ELi2EEEES1X_S1Y_S1Z_S1Z_S20_S1Z_S21_NST_IJLi0ELi1ELi2ELi3ELi4ELi5EEEELi5ELi4EEEDF16_NS5_IJPKDF16_EEEDF16_S8_S8_S9_NSB_INS5_IJSE_SG_SI_SI_SG_SG_SK_SK_SG_SN_SN_SP_SP_SR_SG_SG_NSQ_INS5_IJiNS_17integral_constantIiLi128EEEEEELb0EEENSF_INS27_IiLi2EEEEEEEENS5_IJSU_SV_SW_SX_SY_SZ_S10_S11_S12_S13_S14_S15_S16_S17_S18_NST_IJLi19EEEES1G_NST_IJLi20EEEEEEENS5_IJS1A_SZ_S10_S11_S12_S1B_S1C_S1D_S1E_S15_S16_S18_S17_S1F_S1G_NST_IJLi22EEEENST_IJLi23ELi24EEEENST_IJLi25EEEEEEENST_IJLi22ELi23ELi24ELi25EEEElEENSB_INS5_IJSR_SP_SP_SR_SG_SG_S2A_S2C_EEENS5_IJSU_SV_SW_SY_SX_SZ_S11_S10_EEENS5_IJS1M_SX_SY_S1N_S11_S12_NST_IJLi9ELi10EEEENST_IJLi11EEEEEEENST_IJLi8ELi9ELi10ELi11EEEElEENS5_IJNSB_INS5_IJSK_SP_SP_NSQ_INS5_IJiS2B_NS27_IiLi64EEEEEELb0EEES2W_EEENS5_IJSU_SV_SW_SX_SY_EEENS5_IJS1M_SX_SY_NST_IJLi5ELi6ELi7EEEENST_IJLi8ELi9ELi10EEEEEEENST_IJLi5ELi6ELi7ELi8ELi9ELi10EEEElEEEEES33_NS_31BlockToCTileMap_M00_N00_M01_N01ILi128ELi128ES1V_Lb0EEENS1_30ComputePtrOffsetOfStridedBatchILi1ELi1ELi1EvEELb1ELb0EEEvPKT0_S3B_T1_PT2_T3_T4_T5_iT6_T7_T8_T9_T10_T11_
                                        ; -- End function
	.set _ZN2ck16tensor_operation6device12_GLOBAL__N_137kernel_grouped_conv_fwd_dl_multiple_dINS_32GridwiseGemmDlMultipleD_km_kn_mnILi256EDF16_fNS_5TupleIJDF16_EEEDF16_NS0_12element_wise11PassThroughES8_NS7_7AddReluELNS_25InMemoryDataOperationEnumE0ENS_16TensorDescriptorINS5_IJNS_5EmbedINS5_IJiiiiEEESD_Lb0EEENS_11PassThroughIiEENS_3PadIiiiLb0EEESI_SG_SG_NSC_INS5_IJiiEEESJ_Lb0EEESK_SG_NS_23Merge_v2_magic_divisionINS5_IJiiiEEEEESN_NS_8RightPadIiiLb0EEESP_NS_7UnMergeISJ_Lb0EEESG_EEENS5_IJNS_8SequenceIJLi0EEEENST_IJLi1EEEENST_IJLi2EEEENST_IJLi3EEEENST_IJLi4EEEENST_IJLi5EEEENST_IJLi6EEEENST_IJLi7EEEENST_IJLi8EEEENST_IJLi9ELi11ELi13EEEENST_IJLi10ELi12ELi14EEEENST_IJLi15EEEENST_IJLi16EEEENST_IJLi18EEEENST_IJLi17EEEEEEENS5_IJNST_IJLi1ELi2ELi3ELi4EEEESZ_S10_S11_S12_NST_IJLi9EEEENST_IJLi10ELi11EEEENST_IJLi12ELi13EEEENST_IJLi14EEEES15_S16_S18_S17_NST_IJLi19ELi20EEEENST_IJLi21EEEEEEENST_IJLi19ELi21ELi20EEEElEENSB_INS5_IJSR_SP_SP_SR_SG_EEENS5_IJSU_SV_SW_SY_SX_EEENS5_IJNST_IJLi1ELi2EEEESX_SY_NST_IJLi5ELi6EEEES11_EEENST_IJLi5ELi7ELi6EEEElEENSB_INS5_IJSK_SP_SP_EEENS5_IJSU_SV_SW_EEENS5_IJS1M_SX_SY_EEENST_IJLi3ELi4EEEElEELi128ELi128ELi16ELi2ELi4ELi4ELi1ENST_IJLi8ELi2EEEES1W_NST_IJLi8ELi1ELi1ELi2EEEENST_IJLi2ELi1ELi128ELi1EEEENST_IJLi1ELi2ELi0ELi3EEEES1Z_NST_IJLi4ELi1ELi1ELi2EEEES1Z_NST_IJLi1ELi1ELi1ELi2EEEES1X_S1Y_S1Z_S1Z_S20_S1Z_S21_NST_IJLi0ELi1ELi2ELi3ELi4ELi5EEEELi5ELi4EEEDF16_NS5_IJPKDF16_EEEDF16_S8_S8_S9_NSB_INS5_IJSE_SG_SI_SI_SG_SG_SK_SK_SG_SN_SN_SP_SP_SR_SG_SG_NSQ_INS5_IJiNS_17integral_constantIiLi128EEEEEELb0EEENSF_INS27_IiLi2EEEEEEEENS5_IJSU_SV_SW_SX_SY_SZ_S10_S11_S12_S13_S14_S15_S16_S17_S18_NST_IJLi19EEEES1G_NST_IJLi20EEEEEEENS5_IJS1A_SZ_S10_S11_S12_S1B_S1C_S1D_S1E_S15_S16_S18_S17_S1F_S1G_NST_IJLi22EEEENST_IJLi23ELi24EEEENST_IJLi25EEEEEEENST_IJLi22ELi23ELi24ELi25EEEElEENSB_INS5_IJSR_SP_SP_SR_SG_SG_S2A_S2C_EEENS5_IJSU_SV_SW_SY_SX_SZ_S11_S10_EEENS5_IJS1M_SX_SY_S1N_S11_S12_NST_IJLi9ELi10EEEENST_IJLi11EEEEEEENST_IJLi8ELi9ELi10ELi11EEEElEENS5_IJNSB_INS5_IJSK_SP_SP_NSQ_INS5_IJiS2B_NS27_IiLi64EEEEEELb0EEES2W_EEENS5_IJSU_SV_SW_SX_SY_EEENS5_IJS1M_SX_SY_NST_IJLi5ELi6ELi7EEEENST_IJLi8ELi9ELi10EEEEEEENST_IJLi5ELi6ELi7ELi8ELi9ELi10EEEElEEEEES33_NS_31BlockToCTileMap_M00_N00_M01_N01ILi128ELi128ES1V_Lb0EEENS1_30ComputePtrOffsetOfStridedBatchILi1ELi1ELi1EvEELb1ELb0EEEvPKT0_S3B_T1_PT2_T3_T4_T5_iT6_T7_T8_T9_T10_T11_.num_vgpr, 128
	.set _ZN2ck16tensor_operation6device12_GLOBAL__N_137kernel_grouped_conv_fwd_dl_multiple_dINS_32GridwiseGemmDlMultipleD_km_kn_mnILi256EDF16_fNS_5TupleIJDF16_EEEDF16_NS0_12element_wise11PassThroughES8_NS7_7AddReluELNS_25InMemoryDataOperationEnumE0ENS_16TensorDescriptorINS5_IJNS_5EmbedINS5_IJiiiiEEESD_Lb0EEENS_11PassThroughIiEENS_3PadIiiiLb0EEESI_SG_SG_NSC_INS5_IJiiEEESJ_Lb0EEESK_SG_NS_23Merge_v2_magic_divisionINS5_IJiiiEEEEESN_NS_8RightPadIiiLb0EEESP_NS_7UnMergeISJ_Lb0EEESG_EEENS5_IJNS_8SequenceIJLi0EEEENST_IJLi1EEEENST_IJLi2EEEENST_IJLi3EEEENST_IJLi4EEEENST_IJLi5EEEENST_IJLi6EEEENST_IJLi7EEEENST_IJLi8EEEENST_IJLi9ELi11ELi13EEEENST_IJLi10ELi12ELi14EEEENST_IJLi15EEEENST_IJLi16EEEENST_IJLi18EEEENST_IJLi17EEEEEEENS5_IJNST_IJLi1ELi2ELi3ELi4EEEESZ_S10_S11_S12_NST_IJLi9EEEENST_IJLi10ELi11EEEENST_IJLi12ELi13EEEENST_IJLi14EEEES15_S16_S18_S17_NST_IJLi19ELi20EEEENST_IJLi21EEEEEEENST_IJLi19ELi21ELi20EEEElEENSB_INS5_IJSR_SP_SP_SR_SG_EEENS5_IJSU_SV_SW_SY_SX_EEENS5_IJNST_IJLi1ELi2EEEESX_SY_NST_IJLi5ELi6EEEES11_EEENST_IJLi5ELi7ELi6EEEElEENSB_INS5_IJSK_SP_SP_EEENS5_IJSU_SV_SW_EEENS5_IJS1M_SX_SY_EEENST_IJLi3ELi4EEEElEELi128ELi128ELi16ELi2ELi4ELi4ELi1ENST_IJLi8ELi2EEEES1W_NST_IJLi8ELi1ELi1ELi2EEEENST_IJLi2ELi1ELi128ELi1EEEENST_IJLi1ELi2ELi0ELi3EEEES1Z_NST_IJLi4ELi1ELi1ELi2EEEES1Z_NST_IJLi1ELi1ELi1ELi2EEEES1X_S1Y_S1Z_S1Z_S20_S1Z_S21_NST_IJLi0ELi1ELi2ELi3ELi4ELi5EEEELi5ELi4EEEDF16_NS5_IJPKDF16_EEEDF16_S8_S8_S9_NSB_INS5_IJSE_SG_SI_SI_SG_SG_SK_SK_SG_SN_SN_SP_SP_SR_SG_SG_NSQ_INS5_IJiNS_17integral_constantIiLi128EEEEEELb0EEENSF_INS27_IiLi2EEEEEEEENS5_IJSU_SV_SW_SX_SY_SZ_S10_S11_S12_S13_S14_S15_S16_S17_S18_NST_IJLi19EEEES1G_NST_IJLi20EEEEEEENS5_IJS1A_SZ_S10_S11_S12_S1B_S1C_S1D_S1E_S15_S16_S18_S17_S1F_S1G_NST_IJLi22EEEENST_IJLi23ELi24EEEENST_IJLi25EEEEEEENST_IJLi22ELi23ELi24ELi25EEEElEENSB_INS5_IJSR_SP_SP_SR_SG_SG_S2A_S2C_EEENS5_IJSU_SV_SW_SY_SX_SZ_S11_S10_EEENS5_IJS1M_SX_SY_S1N_S11_S12_NST_IJLi9ELi10EEEENST_IJLi11EEEEEEENST_IJLi8ELi9ELi10ELi11EEEElEENS5_IJNSB_INS5_IJSK_SP_SP_NSQ_INS5_IJiS2B_NS27_IiLi64EEEEEELb0EEES2W_EEENS5_IJSU_SV_SW_SX_SY_EEENS5_IJS1M_SX_SY_NST_IJLi5ELi6ELi7EEEENST_IJLi8ELi9ELi10EEEEEEENST_IJLi5ELi6ELi7ELi8ELi9ELi10EEEElEEEEES33_NS_31BlockToCTileMap_M00_N00_M01_N01ILi128ELi128ES1V_Lb0EEENS1_30ComputePtrOffsetOfStridedBatchILi1ELi1ELi1EvEELb1ELb0EEEvPKT0_S3B_T1_PT2_T3_T4_T5_iT6_T7_T8_T9_T10_T11_.num_agpr, 0
	.set _ZN2ck16tensor_operation6device12_GLOBAL__N_137kernel_grouped_conv_fwd_dl_multiple_dINS_32GridwiseGemmDlMultipleD_km_kn_mnILi256EDF16_fNS_5TupleIJDF16_EEEDF16_NS0_12element_wise11PassThroughES8_NS7_7AddReluELNS_25InMemoryDataOperationEnumE0ENS_16TensorDescriptorINS5_IJNS_5EmbedINS5_IJiiiiEEESD_Lb0EEENS_11PassThroughIiEENS_3PadIiiiLb0EEESI_SG_SG_NSC_INS5_IJiiEEESJ_Lb0EEESK_SG_NS_23Merge_v2_magic_divisionINS5_IJiiiEEEEESN_NS_8RightPadIiiLb0EEESP_NS_7UnMergeISJ_Lb0EEESG_EEENS5_IJNS_8SequenceIJLi0EEEENST_IJLi1EEEENST_IJLi2EEEENST_IJLi3EEEENST_IJLi4EEEENST_IJLi5EEEENST_IJLi6EEEENST_IJLi7EEEENST_IJLi8EEEENST_IJLi9ELi11ELi13EEEENST_IJLi10ELi12ELi14EEEENST_IJLi15EEEENST_IJLi16EEEENST_IJLi18EEEENST_IJLi17EEEEEEENS5_IJNST_IJLi1ELi2ELi3ELi4EEEESZ_S10_S11_S12_NST_IJLi9EEEENST_IJLi10ELi11EEEENST_IJLi12ELi13EEEENST_IJLi14EEEES15_S16_S18_S17_NST_IJLi19ELi20EEEENST_IJLi21EEEEEEENST_IJLi19ELi21ELi20EEEElEENSB_INS5_IJSR_SP_SP_SR_SG_EEENS5_IJSU_SV_SW_SY_SX_EEENS5_IJNST_IJLi1ELi2EEEESX_SY_NST_IJLi5ELi6EEEES11_EEENST_IJLi5ELi7ELi6EEEElEENSB_INS5_IJSK_SP_SP_EEENS5_IJSU_SV_SW_EEENS5_IJS1M_SX_SY_EEENST_IJLi3ELi4EEEElEELi128ELi128ELi16ELi2ELi4ELi4ELi1ENST_IJLi8ELi2EEEES1W_NST_IJLi8ELi1ELi1ELi2EEEENST_IJLi2ELi1ELi128ELi1EEEENST_IJLi1ELi2ELi0ELi3EEEES1Z_NST_IJLi4ELi1ELi1ELi2EEEES1Z_NST_IJLi1ELi1ELi1ELi2EEEES1X_S1Y_S1Z_S1Z_S20_S1Z_S21_NST_IJLi0ELi1ELi2ELi3ELi4ELi5EEEELi5ELi4EEEDF16_NS5_IJPKDF16_EEEDF16_S8_S8_S9_NSB_INS5_IJSE_SG_SI_SI_SG_SG_SK_SK_SG_SN_SN_SP_SP_SR_SG_SG_NSQ_INS5_IJiNS_17integral_constantIiLi128EEEEEELb0EEENSF_INS27_IiLi2EEEEEEEENS5_IJSU_SV_SW_SX_SY_SZ_S10_S11_S12_S13_S14_S15_S16_S17_S18_NST_IJLi19EEEES1G_NST_IJLi20EEEEEEENS5_IJS1A_SZ_S10_S11_S12_S1B_S1C_S1D_S1E_S15_S16_S18_S17_S1F_S1G_NST_IJLi22EEEENST_IJLi23ELi24EEEENST_IJLi25EEEEEEENST_IJLi22ELi23ELi24ELi25EEEElEENSB_INS5_IJSR_SP_SP_SR_SG_SG_S2A_S2C_EEENS5_IJSU_SV_SW_SY_SX_SZ_S11_S10_EEENS5_IJS1M_SX_SY_S1N_S11_S12_NST_IJLi9ELi10EEEENST_IJLi11EEEEEEENST_IJLi8ELi9ELi10ELi11EEEElEENS5_IJNSB_INS5_IJSK_SP_SP_NSQ_INS5_IJiS2B_NS27_IiLi64EEEEEELb0EEES2W_EEENS5_IJSU_SV_SW_SX_SY_EEENS5_IJS1M_SX_SY_NST_IJLi5ELi6ELi7EEEENST_IJLi8ELi9ELi10EEEEEEENST_IJLi5ELi6ELi7ELi8ELi9ELi10EEEElEEEEES33_NS_31BlockToCTileMap_M00_N00_M01_N01ILi128ELi128ES1V_Lb0EEENS1_30ComputePtrOffsetOfStridedBatchILi1ELi1ELi1EvEELb1ELb0EEEvPKT0_S3B_T1_PT2_T3_T4_T5_iT6_T7_T8_T9_T10_T11_.numbered_sgpr, 80
	.set _ZN2ck16tensor_operation6device12_GLOBAL__N_137kernel_grouped_conv_fwd_dl_multiple_dINS_32GridwiseGemmDlMultipleD_km_kn_mnILi256EDF16_fNS_5TupleIJDF16_EEEDF16_NS0_12element_wise11PassThroughES8_NS7_7AddReluELNS_25InMemoryDataOperationEnumE0ENS_16TensorDescriptorINS5_IJNS_5EmbedINS5_IJiiiiEEESD_Lb0EEENS_11PassThroughIiEENS_3PadIiiiLb0EEESI_SG_SG_NSC_INS5_IJiiEEESJ_Lb0EEESK_SG_NS_23Merge_v2_magic_divisionINS5_IJiiiEEEEESN_NS_8RightPadIiiLb0EEESP_NS_7UnMergeISJ_Lb0EEESG_EEENS5_IJNS_8SequenceIJLi0EEEENST_IJLi1EEEENST_IJLi2EEEENST_IJLi3EEEENST_IJLi4EEEENST_IJLi5EEEENST_IJLi6EEEENST_IJLi7EEEENST_IJLi8EEEENST_IJLi9ELi11ELi13EEEENST_IJLi10ELi12ELi14EEEENST_IJLi15EEEENST_IJLi16EEEENST_IJLi18EEEENST_IJLi17EEEEEEENS5_IJNST_IJLi1ELi2ELi3ELi4EEEESZ_S10_S11_S12_NST_IJLi9EEEENST_IJLi10ELi11EEEENST_IJLi12ELi13EEEENST_IJLi14EEEES15_S16_S18_S17_NST_IJLi19ELi20EEEENST_IJLi21EEEEEEENST_IJLi19ELi21ELi20EEEElEENSB_INS5_IJSR_SP_SP_SR_SG_EEENS5_IJSU_SV_SW_SY_SX_EEENS5_IJNST_IJLi1ELi2EEEESX_SY_NST_IJLi5ELi6EEEES11_EEENST_IJLi5ELi7ELi6EEEElEENSB_INS5_IJSK_SP_SP_EEENS5_IJSU_SV_SW_EEENS5_IJS1M_SX_SY_EEENST_IJLi3ELi4EEEElEELi128ELi128ELi16ELi2ELi4ELi4ELi1ENST_IJLi8ELi2EEEES1W_NST_IJLi8ELi1ELi1ELi2EEEENST_IJLi2ELi1ELi128ELi1EEEENST_IJLi1ELi2ELi0ELi3EEEES1Z_NST_IJLi4ELi1ELi1ELi2EEEES1Z_NST_IJLi1ELi1ELi1ELi2EEEES1X_S1Y_S1Z_S1Z_S20_S1Z_S21_NST_IJLi0ELi1ELi2ELi3ELi4ELi5EEEELi5ELi4EEEDF16_NS5_IJPKDF16_EEEDF16_S8_S8_S9_NSB_INS5_IJSE_SG_SI_SI_SG_SG_SK_SK_SG_SN_SN_SP_SP_SR_SG_SG_NSQ_INS5_IJiNS_17integral_constantIiLi128EEEEEELb0EEENSF_INS27_IiLi2EEEEEEEENS5_IJSU_SV_SW_SX_SY_SZ_S10_S11_S12_S13_S14_S15_S16_S17_S18_NST_IJLi19EEEES1G_NST_IJLi20EEEEEEENS5_IJS1A_SZ_S10_S11_S12_S1B_S1C_S1D_S1E_S15_S16_S18_S17_S1F_S1G_NST_IJLi22EEEENST_IJLi23ELi24EEEENST_IJLi25EEEEEEENST_IJLi22ELi23ELi24ELi25EEEElEENSB_INS5_IJSR_SP_SP_SR_SG_SG_S2A_S2C_EEENS5_IJSU_SV_SW_SY_SX_SZ_S11_S10_EEENS5_IJS1M_SX_SY_S1N_S11_S12_NST_IJLi9ELi10EEEENST_IJLi11EEEEEEENST_IJLi8ELi9ELi10ELi11EEEElEENS5_IJNSB_INS5_IJSK_SP_SP_NSQ_INS5_IJiS2B_NS27_IiLi64EEEEEELb0EEES2W_EEENS5_IJSU_SV_SW_SX_SY_EEENS5_IJS1M_SX_SY_NST_IJLi5ELi6ELi7EEEENST_IJLi8ELi9ELi10EEEEEEENST_IJLi5ELi6ELi7ELi8ELi9ELi10EEEElEEEEES33_NS_31BlockToCTileMap_M00_N00_M01_N01ILi128ELi128ES1V_Lb0EEENS1_30ComputePtrOffsetOfStridedBatchILi1ELi1ELi1EvEELb1ELb0EEEvPKT0_S3B_T1_PT2_T3_T4_T5_iT6_T7_T8_T9_T10_T11_.num_named_barrier, 0
	.set _ZN2ck16tensor_operation6device12_GLOBAL__N_137kernel_grouped_conv_fwd_dl_multiple_dINS_32GridwiseGemmDlMultipleD_km_kn_mnILi256EDF16_fNS_5TupleIJDF16_EEEDF16_NS0_12element_wise11PassThroughES8_NS7_7AddReluELNS_25InMemoryDataOperationEnumE0ENS_16TensorDescriptorINS5_IJNS_5EmbedINS5_IJiiiiEEESD_Lb0EEENS_11PassThroughIiEENS_3PadIiiiLb0EEESI_SG_SG_NSC_INS5_IJiiEEESJ_Lb0EEESK_SG_NS_23Merge_v2_magic_divisionINS5_IJiiiEEEEESN_NS_8RightPadIiiLb0EEESP_NS_7UnMergeISJ_Lb0EEESG_EEENS5_IJNS_8SequenceIJLi0EEEENST_IJLi1EEEENST_IJLi2EEEENST_IJLi3EEEENST_IJLi4EEEENST_IJLi5EEEENST_IJLi6EEEENST_IJLi7EEEENST_IJLi8EEEENST_IJLi9ELi11ELi13EEEENST_IJLi10ELi12ELi14EEEENST_IJLi15EEEENST_IJLi16EEEENST_IJLi18EEEENST_IJLi17EEEEEEENS5_IJNST_IJLi1ELi2ELi3ELi4EEEESZ_S10_S11_S12_NST_IJLi9EEEENST_IJLi10ELi11EEEENST_IJLi12ELi13EEEENST_IJLi14EEEES15_S16_S18_S17_NST_IJLi19ELi20EEEENST_IJLi21EEEEEEENST_IJLi19ELi21ELi20EEEElEENSB_INS5_IJSR_SP_SP_SR_SG_EEENS5_IJSU_SV_SW_SY_SX_EEENS5_IJNST_IJLi1ELi2EEEESX_SY_NST_IJLi5ELi6EEEES11_EEENST_IJLi5ELi7ELi6EEEElEENSB_INS5_IJSK_SP_SP_EEENS5_IJSU_SV_SW_EEENS5_IJS1M_SX_SY_EEENST_IJLi3ELi4EEEElEELi128ELi128ELi16ELi2ELi4ELi4ELi1ENST_IJLi8ELi2EEEES1W_NST_IJLi8ELi1ELi1ELi2EEEENST_IJLi2ELi1ELi128ELi1EEEENST_IJLi1ELi2ELi0ELi3EEEES1Z_NST_IJLi4ELi1ELi1ELi2EEEES1Z_NST_IJLi1ELi1ELi1ELi2EEEES1X_S1Y_S1Z_S1Z_S20_S1Z_S21_NST_IJLi0ELi1ELi2ELi3ELi4ELi5EEEELi5ELi4EEEDF16_NS5_IJPKDF16_EEEDF16_S8_S8_S9_NSB_INS5_IJSE_SG_SI_SI_SG_SG_SK_SK_SG_SN_SN_SP_SP_SR_SG_SG_NSQ_INS5_IJiNS_17integral_constantIiLi128EEEEEELb0EEENSF_INS27_IiLi2EEEEEEEENS5_IJSU_SV_SW_SX_SY_SZ_S10_S11_S12_S13_S14_S15_S16_S17_S18_NST_IJLi19EEEES1G_NST_IJLi20EEEEEEENS5_IJS1A_SZ_S10_S11_S12_S1B_S1C_S1D_S1E_S15_S16_S18_S17_S1F_S1G_NST_IJLi22EEEENST_IJLi23ELi24EEEENST_IJLi25EEEEEEENST_IJLi22ELi23ELi24ELi25EEEElEENSB_INS5_IJSR_SP_SP_SR_SG_SG_S2A_S2C_EEENS5_IJSU_SV_SW_SY_SX_SZ_S11_S10_EEENS5_IJS1M_SX_SY_S1N_S11_S12_NST_IJLi9ELi10EEEENST_IJLi11EEEEEEENST_IJLi8ELi9ELi10ELi11EEEElEENS5_IJNSB_INS5_IJSK_SP_SP_NSQ_INS5_IJiS2B_NS27_IiLi64EEEEEELb0EEES2W_EEENS5_IJSU_SV_SW_SX_SY_EEENS5_IJS1M_SX_SY_NST_IJLi5ELi6ELi7EEEENST_IJLi8ELi9ELi10EEEEEEENST_IJLi5ELi6ELi7ELi8ELi9ELi10EEEElEEEEES33_NS_31BlockToCTileMap_M00_N00_M01_N01ILi128ELi128ES1V_Lb0EEENS1_30ComputePtrOffsetOfStridedBatchILi1ELi1ELi1EvEELb1ELb0EEEvPKT0_S3B_T1_PT2_T3_T4_T5_iT6_T7_T8_T9_T10_T11_.private_seg_size, 132
	.set _ZN2ck16tensor_operation6device12_GLOBAL__N_137kernel_grouped_conv_fwd_dl_multiple_dINS_32GridwiseGemmDlMultipleD_km_kn_mnILi256EDF16_fNS_5TupleIJDF16_EEEDF16_NS0_12element_wise11PassThroughES8_NS7_7AddReluELNS_25InMemoryDataOperationEnumE0ENS_16TensorDescriptorINS5_IJNS_5EmbedINS5_IJiiiiEEESD_Lb0EEENS_11PassThroughIiEENS_3PadIiiiLb0EEESI_SG_SG_NSC_INS5_IJiiEEESJ_Lb0EEESK_SG_NS_23Merge_v2_magic_divisionINS5_IJiiiEEEEESN_NS_8RightPadIiiLb0EEESP_NS_7UnMergeISJ_Lb0EEESG_EEENS5_IJNS_8SequenceIJLi0EEEENST_IJLi1EEEENST_IJLi2EEEENST_IJLi3EEEENST_IJLi4EEEENST_IJLi5EEEENST_IJLi6EEEENST_IJLi7EEEENST_IJLi8EEEENST_IJLi9ELi11ELi13EEEENST_IJLi10ELi12ELi14EEEENST_IJLi15EEEENST_IJLi16EEEENST_IJLi18EEEENST_IJLi17EEEEEEENS5_IJNST_IJLi1ELi2ELi3ELi4EEEESZ_S10_S11_S12_NST_IJLi9EEEENST_IJLi10ELi11EEEENST_IJLi12ELi13EEEENST_IJLi14EEEES15_S16_S18_S17_NST_IJLi19ELi20EEEENST_IJLi21EEEEEEENST_IJLi19ELi21ELi20EEEElEENSB_INS5_IJSR_SP_SP_SR_SG_EEENS5_IJSU_SV_SW_SY_SX_EEENS5_IJNST_IJLi1ELi2EEEESX_SY_NST_IJLi5ELi6EEEES11_EEENST_IJLi5ELi7ELi6EEEElEENSB_INS5_IJSK_SP_SP_EEENS5_IJSU_SV_SW_EEENS5_IJS1M_SX_SY_EEENST_IJLi3ELi4EEEElEELi128ELi128ELi16ELi2ELi4ELi4ELi1ENST_IJLi8ELi2EEEES1W_NST_IJLi8ELi1ELi1ELi2EEEENST_IJLi2ELi1ELi128ELi1EEEENST_IJLi1ELi2ELi0ELi3EEEES1Z_NST_IJLi4ELi1ELi1ELi2EEEES1Z_NST_IJLi1ELi1ELi1ELi2EEEES1X_S1Y_S1Z_S1Z_S20_S1Z_S21_NST_IJLi0ELi1ELi2ELi3ELi4ELi5EEEELi5ELi4EEEDF16_NS5_IJPKDF16_EEEDF16_S8_S8_S9_NSB_INS5_IJSE_SG_SI_SI_SG_SG_SK_SK_SG_SN_SN_SP_SP_SR_SG_SG_NSQ_INS5_IJiNS_17integral_constantIiLi128EEEEEELb0EEENSF_INS27_IiLi2EEEEEEEENS5_IJSU_SV_SW_SX_SY_SZ_S10_S11_S12_S13_S14_S15_S16_S17_S18_NST_IJLi19EEEES1G_NST_IJLi20EEEEEEENS5_IJS1A_SZ_S10_S11_S12_S1B_S1C_S1D_S1E_S15_S16_S18_S17_S1F_S1G_NST_IJLi22EEEENST_IJLi23ELi24EEEENST_IJLi25EEEEEEENST_IJLi22ELi23ELi24ELi25EEEElEENSB_INS5_IJSR_SP_SP_SR_SG_SG_S2A_S2C_EEENS5_IJSU_SV_SW_SY_SX_SZ_S11_S10_EEENS5_IJS1M_SX_SY_S1N_S11_S12_NST_IJLi9ELi10EEEENST_IJLi11EEEEEEENST_IJLi8ELi9ELi10ELi11EEEElEENS5_IJNSB_INS5_IJSK_SP_SP_NSQ_INS5_IJiS2B_NS27_IiLi64EEEEEELb0EEES2W_EEENS5_IJSU_SV_SW_SX_SY_EEENS5_IJS1M_SX_SY_NST_IJLi5ELi6ELi7EEEENST_IJLi8ELi9ELi10EEEEEEENST_IJLi5ELi6ELi7ELi8ELi9ELi10EEEElEEEEES33_NS_31BlockToCTileMap_M00_N00_M01_N01ILi128ELi128ES1V_Lb0EEENS1_30ComputePtrOffsetOfStridedBatchILi1ELi1ELi1EvEELb1ELb0EEEvPKT0_S3B_T1_PT2_T3_T4_T5_iT6_T7_T8_T9_T10_T11_.uses_vcc, 1
	.set _ZN2ck16tensor_operation6device12_GLOBAL__N_137kernel_grouped_conv_fwd_dl_multiple_dINS_32GridwiseGemmDlMultipleD_km_kn_mnILi256EDF16_fNS_5TupleIJDF16_EEEDF16_NS0_12element_wise11PassThroughES8_NS7_7AddReluELNS_25InMemoryDataOperationEnumE0ENS_16TensorDescriptorINS5_IJNS_5EmbedINS5_IJiiiiEEESD_Lb0EEENS_11PassThroughIiEENS_3PadIiiiLb0EEESI_SG_SG_NSC_INS5_IJiiEEESJ_Lb0EEESK_SG_NS_23Merge_v2_magic_divisionINS5_IJiiiEEEEESN_NS_8RightPadIiiLb0EEESP_NS_7UnMergeISJ_Lb0EEESG_EEENS5_IJNS_8SequenceIJLi0EEEENST_IJLi1EEEENST_IJLi2EEEENST_IJLi3EEEENST_IJLi4EEEENST_IJLi5EEEENST_IJLi6EEEENST_IJLi7EEEENST_IJLi8EEEENST_IJLi9ELi11ELi13EEEENST_IJLi10ELi12ELi14EEEENST_IJLi15EEEENST_IJLi16EEEENST_IJLi18EEEENST_IJLi17EEEEEEENS5_IJNST_IJLi1ELi2ELi3ELi4EEEESZ_S10_S11_S12_NST_IJLi9EEEENST_IJLi10ELi11EEEENST_IJLi12ELi13EEEENST_IJLi14EEEES15_S16_S18_S17_NST_IJLi19ELi20EEEENST_IJLi21EEEEEEENST_IJLi19ELi21ELi20EEEElEENSB_INS5_IJSR_SP_SP_SR_SG_EEENS5_IJSU_SV_SW_SY_SX_EEENS5_IJNST_IJLi1ELi2EEEESX_SY_NST_IJLi5ELi6EEEES11_EEENST_IJLi5ELi7ELi6EEEElEENSB_INS5_IJSK_SP_SP_EEENS5_IJSU_SV_SW_EEENS5_IJS1M_SX_SY_EEENST_IJLi3ELi4EEEElEELi128ELi128ELi16ELi2ELi4ELi4ELi1ENST_IJLi8ELi2EEEES1W_NST_IJLi8ELi1ELi1ELi2EEEENST_IJLi2ELi1ELi128ELi1EEEENST_IJLi1ELi2ELi0ELi3EEEES1Z_NST_IJLi4ELi1ELi1ELi2EEEES1Z_NST_IJLi1ELi1ELi1ELi2EEEES1X_S1Y_S1Z_S1Z_S20_S1Z_S21_NST_IJLi0ELi1ELi2ELi3ELi4ELi5EEEELi5ELi4EEEDF16_NS5_IJPKDF16_EEEDF16_S8_S8_S9_NSB_INS5_IJSE_SG_SI_SI_SG_SG_SK_SK_SG_SN_SN_SP_SP_SR_SG_SG_NSQ_INS5_IJiNS_17integral_constantIiLi128EEEEEELb0EEENSF_INS27_IiLi2EEEEEEEENS5_IJSU_SV_SW_SX_SY_SZ_S10_S11_S12_S13_S14_S15_S16_S17_S18_NST_IJLi19EEEES1G_NST_IJLi20EEEEEEENS5_IJS1A_SZ_S10_S11_S12_S1B_S1C_S1D_S1E_S15_S16_S18_S17_S1F_S1G_NST_IJLi22EEEENST_IJLi23ELi24EEEENST_IJLi25EEEEEEENST_IJLi22ELi23ELi24ELi25EEEElEENSB_INS5_IJSR_SP_SP_SR_SG_SG_S2A_S2C_EEENS5_IJSU_SV_SW_SY_SX_SZ_S11_S10_EEENS5_IJS1M_SX_SY_S1N_S11_S12_NST_IJLi9ELi10EEEENST_IJLi11EEEEEEENST_IJLi8ELi9ELi10ELi11EEEElEENS5_IJNSB_INS5_IJSK_SP_SP_NSQ_INS5_IJiS2B_NS27_IiLi64EEEEEELb0EEES2W_EEENS5_IJSU_SV_SW_SX_SY_EEENS5_IJS1M_SX_SY_NST_IJLi5ELi6ELi7EEEENST_IJLi8ELi9ELi10EEEEEEENST_IJLi5ELi6ELi7ELi8ELi9ELi10EEEElEEEEES33_NS_31BlockToCTileMap_M00_N00_M01_N01ILi128ELi128ES1V_Lb0EEENS1_30ComputePtrOffsetOfStridedBatchILi1ELi1ELi1EvEELb1ELb0EEEvPKT0_S3B_T1_PT2_T3_T4_T5_iT6_T7_T8_T9_T10_T11_.uses_flat_scratch, 0
	.set _ZN2ck16tensor_operation6device12_GLOBAL__N_137kernel_grouped_conv_fwd_dl_multiple_dINS_32GridwiseGemmDlMultipleD_km_kn_mnILi256EDF16_fNS_5TupleIJDF16_EEEDF16_NS0_12element_wise11PassThroughES8_NS7_7AddReluELNS_25InMemoryDataOperationEnumE0ENS_16TensorDescriptorINS5_IJNS_5EmbedINS5_IJiiiiEEESD_Lb0EEENS_11PassThroughIiEENS_3PadIiiiLb0EEESI_SG_SG_NSC_INS5_IJiiEEESJ_Lb0EEESK_SG_NS_23Merge_v2_magic_divisionINS5_IJiiiEEEEESN_NS_8RightPadIiiLb0EEESP_NS_7UnMergeISJ_Lb0EEESG_EEENS5_IJNS_8SequenceIJLi0EEEENST_IJLi1EEEENST_IJLi2EEEENST_IJLi3EEEENST_IJLi4EEEENST_IJLi5EEEENST_IJLi6EEEENST_IJLi7EEEENST_IJLi8EEEENST_IJLi9ELi11ELi13EEEENST_IJLi10ELi12ELi14EEEENST_IJLi15EEEENST_IJLi16EEEENST_IJLi18EEEENST_IJLi17EEEEEEENS5_IJNST_IJLi1ELi2ELi3ELi4EEEESZ_S10_S11_S12_NST_IJLi9EEEENST_IJLi10ELi11EEEENST_IJLi12ELi13EEEENST_IJLi14EEEES15_S16_S18_S17_NST_IJLi19ELi20EEEENST_IJLi21EEEEEEENST_IJLi19ELi21ELi20EEEElEENSB_INS5_IJSR_SP_SP_SR_SG_EEENS5_IJSU_SV_SW_SY_SX_EEENS5_IJNST_IJLi1ELi2EEEESX_SY_NST_IJLi5ELi6EEEES11_EEENST_IJLi5ELi7ELi6EEEElEENSB_INS5_IJSK_SP_SP_EEENS5_IJSU_SV_SW_EEENS5_IJS1M_SX_SY_EEENST_IJLi3ELi4EEEElEELi128ELi128ELi16ELi2ELi4ELi4ELi1ENST_IJLi8ELi2EEEES1W_NST_IJLi8ELi1ELi1ELi2EEEENST_IJLi2ELi1ELi128ELi1EEEENST_IJLi1ELi2ELi0ELi3EEEES1Z_NST_IJLi4ELi1ELi1ELi2EEEES1Z_NST_IJLi1ELi1ELi1ELi2EEEES1X_S1Y_S1Z_S1Z_S20_S1Z_S21_NST_IJLi0ELi1ELi2ELi3ELi4ELi5EEEELi5ELi4EEEDF16_NS5_IJPKDF16_EEEDF16_S8_S8_S9_NSB_INS5_IJSE_SG_SI_SI_SG_SG_SK_SK_SG_SN_SN_SP_SP_SR_SG_SG_NSQ_INS5_IJiNS_17integral_constantIiLi128EEEEEELb0EEENSF_INS27_IiLi2EEEEEEEENS5_IJSU_SV_SW_SX_SY_SZ_S10_S11_S12_S13_S14_S15_S16_S17_S18_NST_IJLi19EEEES1G_NST_IJLi20EEEEEEENS5_IJS1A_SZ_S10_S11_S12_S1B_S1C_S1D_S1E_S15_S16_S18_S17_S1F_S1G_NST_IJLi22EEEENST_IJLi23ELi24EEEENST_IJLi25EEEEEEENST_IJLi22ELi23ELi24ELi25EEEElEENSB_INS5_IJSR_SP_SP_SR_SG_SG_S2A_S2C_EEENS5_IJSU_SV_SW_SY_SX_SZ_S11_S10_EEENS5_IJS1M_SX_SY_S1N_S11_S12_NST_IJLi9ELi10EEEENST_IJLi11EEEEEEENST_IJLi8ELi9ELi10ELi11EEEElEENS5_IJNSB_INS5_IJSK_SP_SP_NSQ_INS5_IJiS2B_NS27_IiLi64EEEEEELb0EEES2W_EEENS5_IJSU_SV_SW_SX_SY_EEENS5_IJS1M_SX_SY_NST_IJLi5ELi6ELi7EEEENST_IJLi8ELi9ELi10EEEEEEENST_IJLi5ELi6ELi7ELi8ELi9ELi10EEEElEEEEES33_NS_31BlockToCTileMap_M00_N00_M01_N01ILi128ELi128ES1V_Lb0EEENS1_30ComputePtrOffsetOfStridedBatchILi1ELi1ELi1EvEELb1ELb0EEEvPKT0_S3B_T1_PT2_T3_T4_T5_iT6_T7_T8_T9_T10_T11_.has_dyn_sized_stack, 0
	.set _ZN2ck16tensor_operation6device12_GLOBAL__N_137kernel_grouped_conv_fwd_dl_multiple_dINS_32GridwiseGemmDlMultipleD_km_kn_mnILi256EDF16_fNS_5TupleIJDF16_EEEDF16_NS0_12element_wise11PassThroughES8_NS7_7AddReluELNS_25InMemoryDataOperationEnumE0ENS_16TensorDescriptorINS5_IJNS_5EmbedINS5_IJiiiiEEESD_Lb0EEENS_11PassThroughIiEENS_3PadIiiiLb0EEESI_SG_SG_NSC_INS5_IJiiEEESJ_Lb0EEESK_SG_NS_23Merge_v2_magic_divisionINS5_IJiiiEEEEESN_NS_8RightPadIiiLb0EEESP_NS_7UnMergeISJ_Lb0EEESG_EEENS5_IJNS_8SequenceIJLi0EEEENST_IJLi1EEEENST_IJLi2EEEENST_IJLi3EEEENST_IJLi4EEEENST_IJLi5EEEENST_IJLi6EEEENST_IJLi7EEEENST_IJLi8EEEENST_IJLi9ELi11ELi13EEEENST_IJLi10ELi12ELi14EEEENST_IJLi15EEEENST_IJLi16EEEENST_IJLi18EEEENST_IJLi17EEEEEEENS5_IJNST_IJLi1ELi2ELi3ELi4EEEESZ_S10_S11_S12_NST_IJLi9EEEENST_IJLi10ELi11EEEENST_IJLi12ELi13EEEENST_IJLi14EEEES15_S16_S18_S17_NST_IJLi19ELi20EEEENST_IJLi21EEEEEEENST_IJLi19ELi21ELi20EEEElEENSB_INS5_IJSR_SP_SP_SR_SG_EEENS5_IJSU_SV_SW_SY_SX_EEENS5_IJNST_IJLi1ELi2EEEESX_SY_NST_IJLi5ELi6EEEES11_EEENST_IJLi5ELi7ELi6EEEElEENSB_INS5_IJSK_SP_SP_EEENS5_IJSU_SV_SW_EEENS5_IJS1M_SX_SY_EEENST_IJLi3ELi4EEEElEELi128ELi128ELi16ELi2ELi4ELi4ELi1ENST_IJLi8ELi2EEEES1W_NST_IJLi8ELi1ELi1ELi2EEEENST_IJLi2ELi1ELi128ELi1EEEENST_IJLi1ELi2ELi0ELi3EEEES1Z_NST_IJLi4ELi1ELi1ELi2EEEES1Z_NST_IJLi1ELi1ELi1ELi2EEEES1X_S1Y_S1Z_S1Z_S20_S1Z_S21_NST_IJLi0ELi1ELi2ELi3ELi4ELi5EEEELi5ELi4EEEDF16_NS5_IJPKDF16_EEEDF16_S8_S8_S9_NSB_INS5_IJSE_SG_SI_SI_SG_SG_SK_SK_SG_SN_SN_SP_SP_SR_SG_SG_NSQ_INS5_IJiNS_17integral_constantIiLi128EEEEEELb0EEENSF_INS27_IiLi2EEEEEEEENS5_IJSU_SV_SW_SX_SY_SZ_S10_S11_S12_S13_S14_S15_S16_S17_S18_NST_IJLi19EEEES1G_NST_IJLi20EEEEEEENS5_IJS1A_SZ_S10_S11_S12_S1B_S1C_S1D_S1E_S15_S16_S18_S17_S1F_S1G_NST_IJLi22EEEENST_IJLi23ELi24EEEENST_IJLi25EEEEEEENST_IJLi22ELi23ELi24ELi25EEEElEENSB_INS5_IJSR_SP_SP_SR_SG_SG_S2A_S2C_EEENS5_IJSU_SV_SW_SY_SX_SZ_S11_S10_EEENS5_IJS1M_SX_SY_S1N_S11_S12_NST_IJLi9ELi10EEEENST_IJLi11EEEEEEENST_IJLi8ELi9ELi10ELi11EEEElEENS5_IJNSB_INS5_IJSK_SP_SP_NSQ_INS5_IJiS2B_NS27_IiLi64EEEEEELb0EEES2W_EEENS5_IJSU_SV_SW_SX_SY_EEENS5_IJS1M_SX_SY_NST_IJLi5ELi6ELi7EEEENST_IJLi8ELi9ELi10EEEEEEENST_IJLi5ELi6ELi7ELi8ELi9ELi10EEEElEEEEES33_NS_31BlockToCTileMap_M00_N00_M01_N01ILi128ELi128ES1V_Lb0EEENS1_30ComputePtrOffsetOfStridedBatchILi1ELi1ELi1EvEELb1ELb0EEEvPKT0_S3B_T1_PT2_T3_T4_T5_iT6_T7_T8_T9_T10_T11_.has_recursion, 0
	.set _ZN2ck16tensor_operation6device12_GLOBAL__N_137kernel_grouped_conv_fwd_dl_multiple_dINS_32GridwiseGemmDlMultipleD_km_kn_mnILi256EDF16_fNS_5TupleIJDF16_EEEDF16_NS0_12element_wise11PassThroughES8_NS7_7AddReluELNS_25InMemoryDataOperationEnumE0ENS_16TensorDescriptorINS5_IJNS_5EmbedINS5_IJiiiiEEESD_Lb0EEENS_11PassThroughIiEENS_3PadIiiiLb0EEESI_SG_SG_NSC_INS5_IJiiEEESJ_Lb0EEESK_SG_NS_23Merge_v2_magic_divisionINS5_IJiiiEEEEESN_NS_8RightPadIiiLb0EEESP_NS_7UnMergeISJ_Lb0EEESG_EEENS5_IJNS_8SequenceIJLi0EEEENST_IJLi1EEEENST_IJLi2EEEENST_IJLi3EEEENST_IJLi4EEEENST_IJLi5EEEENST_IJLi6EEEENST_IJLi7EEEENST_IJLi8EEEENST_IJLi9ELi11ELi13EEEENST_IJLi10ELi12ELi14EEEENST_IJLi15EEEENST_IJLi16EEEENST_IJLi18EEEENST_IJLi17EEEEEEENS5_IJNST_IJLi1ELi2ELi3ELi4EEEESZ_S10_S11_S12_NST_IJLi9EEEENST_IJLi10ELi11EEEENST_IJLi12ELi13EEEENST_IJLi14EEEES15_S16_S18_S17_NST_IJLi19ELi20EEEENST_IJLi21EEEEEEENST_IJLi19ELi21ELi20EEEElEENSB_INS5_IJSR_SP_SP_SR_SG_EEENS5_IJSU_SV_SW_SY_SX_EEENS5_IJNST_IJLi1ELi2EEEESX_SY_NST_IJLi5ELi6EEEES11_EEENST_IJLi5ELi7ELi6EEEElEENSB_INS5_IJSK_SP_SP_EEENS5_IJSU_SV_SW_EEENS5_IJS1M_SX_SY_EEENST_IJLi3ELi4EEEElEELi128ELi128ELi16ELi2ELi4ELi4ELi1ENST_IJLi8ELi2EEEES1W_NST_IJLi8ELi1ELi1ELi2EEEENST_IJLi2ELi1ELi128ELi1EEEENST_IJLi1ELi2ELi0ELi3EEEES1Z_NST_IJLi4ELi1ELi1ELi2EEEES1Z_NST_IJLi1ELi1ELi1ELi2EEEES1X_S1Y_S1Z_S1Z_S20_S1Z_S21_NST_IJLi0ELi1ELi2ELi3ELi4ELi5EEEELi5ELi4EEEDF16_NS5_IJPKDF16_EEEDF16_S8_S8_S9_NSB_INS5_IJSE_SG_SI_SI_SG_SG_SK_SK_SG_SN_SN_SP_SP_SR_SG_SG_NSQ_INS5_IJiNS_17integral_constantIiLi128EEEEEELb0EEENSF_INS27_IiLi2EEEEEEEENS5_IJSU_SV_SW_SX_SY_SZ_S10_S11_S12_S13_S14_S15_S16_S17_S18_NST_IJLi19EEEES1G_NST_IJLi20EEEEEEENS5_IJS1A_SZ_S10_S11_S12_S1B_S1C_S1D_S1E_S15_S16_S18_S17_S1F_S1G_NST_IJLi22EEEENST_IJLi23ELi24EEEENST_IJLi25EEEEEEENST_IJLi22ELi23ELi24ELi25EEEElEENSB_INS5_IJSR_SP_SP_SR_SG_SG_S2A_S2C_EEENS5_IJSU_SV_SW_SY_SX_SZ_S11_S10_EEENS5_IJS1M_SX_SY_S1N_S11_S12_NST_IJLi9ELi10EEEENST_IJLi11EEEEEEENST_IJLi8ELi9ELi10ELi11EEEElEENS5_IJNSB_INS5_IJSK_SP_SP_NSQ_INS5_IJiS2B_NS27_IiLi64EEEEEELb0EEES2W_EEENS5_IJSU_SV_SW_SX_SY_EEENS5_IJS1M_SX_SY_NST_IJLi5ELi6ELi7EEEENST_IJLi8ELi9ELi10EEEEEEENST_IJLi5ELi6ELi7ELi8ELi9ELi10EEEElEEEEES33_NS_31BlockToCTileMap_M00_N00_M01_N01ILi128ELi128ES1V_Lb0EEENS1_30ComputePtrOffsetOfStridedBatchILi1ELi1ELi1EvEELb1ELb0EEEvPKT0_S3B_T1_PT2_T3_T4_T5_iT6_T7_T8_T9_T10_T11_.has_indirect_call, 0
	.section	.AMDGPU.csdata,"",@progbits
; Kernel info:
; codeLenInByte = 33836
; TotalNumSgprs: 84
; NumVgprs: 128
; ScratchSize: 132
; MemoryBound: 0
; FloatMode: 240
; IeeeMode: 1
; LDSByteSize: 32768 bytes/workgroup (compile time only)
; SGPRBlocks: 12
; VGPRBlocks: 31
; NumSGPRsForWavesPerEU: 102
; NumVGPRsForWavesPerEU: 128
; Occupancy: 2
; WaveLimiterHint : 0
; COMPUTE_PGM_RSRC2:SCRATCH_EN: 1
; COMPUTE_PGM_RSRC2:USER_SGPR: 6
; COMPUTE_PGM_RSRC2:TRAP_HANDLER: 0
; COMPUTE_PGM_RSRC2:TGID_X_EN: 1
; COMPUTE_PGM_RSRC2:TGID_Y_EN: 0
; COMPUTE_PGM_RSRC2:TGID_Z_EN: 0
; COMPUTE_PGM_RSRC2:TIDIG_COMP_CNT: 0
	.section	.text._ZN2ck16tensor_operation6device12_GLOBAL__N_137kernel_grouped_conv_fwd_dl_multiple_dINS_32GridwiseGemmDlMultipleD_km_kn_mnILi256EDF16_fNS_5TupleIJDF16_EEEDF16_NS0_12element_wise11PassThroughES8_NS7_7AddReluELNS_25InMemoryDataOperationEnumE0ENS_16TensorDescriptorINS5_IJNS_5EmbedINS5_IJiiiiEEESD_Lb0EEENS_11PassThroughIiEENS_3PadIiiiLb0EEESI_SG_SG_NSC_INS5_IJiiEEESJ_Lb0EEESK_SG_NS_23Merge_v2_magic_divisionINS5_IJiiiEEEEESN_NS_8RightPadIiiLb0EEESP_NS_7UnMergeISJ_Lb0EEESG_EEENS5_IJNS_8SequenceIJLi0EEEENST_IJLi1EEEENST_IJLi2EEEENST_IJLi3EEEENST_IJLi4EEEENST_IJLi5EEEENST_IJLi6EEEENST_IJLi7EEEENST_IJLi8EEEENST_IJLi9ELi11ELi13EEEENST_IJLi10ELi12ELi14EEEENST_IJLi15EEEENST_IJLi16EEEENST_IJLi18EEEENST_IJLi17EEEEEEENS5_IJNST_IJLi1ELi2ELi3ELi4EEEESZ_S10_S11_S12_NST_IJLi9EEEENST_IJLi10ELi11EEEENST_IJLi12ELi13EEEENST_IJLi14EEEES15_S16_S18_S17_NST_IJLi19ELi20EEEENST_IJLi21EEEEEEENST_IJLi19ELi21ELi20EEEElEENSB_INS5_IJSR_SP_SP_SR_SG_EEENS5_IJSU_SV_SW_SY_SX_EEENS5_IJNST_IJLi1ELi2EEEESX_SY_NST_IJLi5ELi6EEEES11_EEENST_IJLi5ELi7ELi6EEEElEENSB_INS5_IJSK_SP_SP_EEENS5_IJSU_SV_SW_EEENS5_IJS1M_SX_SY_EEENST_IJLi3ELi4EEEElEELi128ELi128ELi16ELi2ELi4ELi4ELi1ENST_IJLi8ELi2EEEES1W_NST_IJLi8ELi1ELi1ELi2EEEENST_IJLi2ELi1ELi128ELi1EEEENST_IJLi1ELi2ELi0ELi3EEEES1Z_NST_IJLi4ELi1ELi1ELi2EEEES1Z_NST_IJLi1ELi1ELi1ELi2EEEES1X_S1Y_S1Z_S1Z_S20_S1Z_S21_NST_IJLi0ELi1ELi2ELi3ELi4ELi5EEEELi5ELi4EEEDF16_NS5_IJPKDF16_EEEDF16_S8_S8_S9_NSB_INS5_IJSE_SG_SI_SI_SG_SG_SK_SK_SG_SN_SN_SP_SP_SR_SG_SG_NSQ_INS5_IJiNS_17integral_constantIiLi128EEEEEELb0EEENSF_INS27_IiLi2EEEEEEEENS5_IJSU_SV_SW_SX_SY_SZ_S10_S11_S12_S13_S14_S15_S16_S17_S18_NST_IJLi19EEEES1G_NST_IJLi20EEEEEEENS5_IJS1A_SZ_S10_S11_S12_S1B_S1C_S1D_S1E_S15_S16_S18_S17_S1F_S1G_NST_IJLi22EEEENST_IJLi23ELi24EEEENST_IJLi25EEEEEEENST_IJLi22ELi23ELi24ELi25EEEElEENSB_INS5_IJSR_SP_SP_SR_SG_SG_S2A_S2C_EEENS5_IJSU_SV_SW_SY_SX_SZ_S11_S10_EEENS5_IJS1M_SX_SY_S1N_S11_S12_NST_IJLi9ELi10EEEENST_IJLi11EEEEEEENST_IJLi8ELi9ELi10ELi11EEEElEENS5_IJNSB_INS5_IJSK_SP_SP_NSQ_INS5_IJiS2B_NS27_IiLi64EEEEEELb0EEES2W_EEENS5_IJSU_SV_SW_SX_SY_EEENS5_IJS1M_SX_SY_NST_IJLi5ELi6ELi7EEEENST_IJLi8ELi9ELi10EEEEEEENST_IJLi5ELi6ELi7ELi8ELi9ELi10EEEElEEEEES33_NS_31BlockToCTileMap_M00_N00_M01_N01ILi128ELi128ES1V_Lb0EEENS1_30ComputePtrOffsetOfStridedBatchILi1ELi1ELi1EvEELb0ELb1EEEvPKT0_S3B_T1_PT2_T3_T4_T5_iT6_T7_T8_T9_T10_T11_,"axG",@progbits,_ZN2ck16tensor_operation6device12_GLOBAL__N_137kernel_grouped_conv_fwd_dl_multiple_dINS_32GridwiseGemmDlMultipleD_km_kn_mnILi256EDF16_fNS_5TupleIJDF16_EEEDF16_NS0_12element_wise11PassThroughES8_NS7_7AddReluELNS_25InMemoryDataOperationEnumE0ENS_16TensorDescriptorINS5_IJNS_5EmbedINS5_IJiiiiEEESD_Lb0EEENS_11PassThroughIiEENS_3PadIiiiLb0EEESI_SG_SG_NSC_INS5_IJiiEEESJ_Lb0EEESK_SG_NS_23Merge_v2_magic_divisionINS5_IJiiiEEEEESN_NS_8RightPadIiiLb0EEESP_NS_7UnMergeISJ_Lb0EEESG_EEENS5_IJNS_8SequenceIJLi0EEEENST_IJLi1EEEENST_IJLi2EEEENST_IJLi3EEEENST_IJLi4EEEENST_IJLi5EEEENST_IJLi6EEEENST_IJLi7EEEENST_IJLi8EEEENST_IJLi9ELi11ELi13EEEENST_IJLi10ELi12ELi14EEEENST_IJLi15EEEENST_IJLi16EEEENST_IJLi18EEEENST_IJLi17EEEEEEENS5_IJNST_IJLi1ELi2ELi3ELi4EEEESZ_S10_S11_S12_NST_IJLi9EEEENST_IJLi10ELi11EEEENST_IJLi12ELi13EEEENST_IJLi14EEEES15_S16_S18_S17_NST_IJLi19ELi20EEEENST_IJLi21EEEEEEENST_IJLi19ELi21ELi20EEEElEENSB_INS5_IJSR_SP_SP_SR_SG_EEENS5_IJSU_SV_SW_SY_SX_EEENS5_IJNST_IJLi1ELi2EEEESX_SY_NST_IJLi5ELi6EEEES11_EEENST_IJLi5ELi7ELi6EEEElEENSB_INS5_IJSK_SP_SP_EEENS5_IJSU_SV_SW_EEENS5_IJS1M_SX_SY_EEENST_IJLi3ELi4EEEElEELi128ELi128ELi16ELi2ELi4ELi4ELi1ENST_IJLi8ELi2EEEES1W_NST_IJLi8ELi1ELi1ELi2EEEENST_IJLi2ELi1ELi128ELi1EEEENST_IJLi1ELi2ELi0ELi3EEEES1Z_NST_IJLi4ELi1ELi1ELi2EEEES1Z_NST_IJLi1ELi1ELi1ELi2EEEES1X_S1Y_S1Z_S1Z_S20_S1Z_S21_NST_IJLi0ELi1ELi2ELi3ELi4ELi5EEEELi5ELi4EEEDF16_NS5_IJPKDF16_EEEDF16_S8_S8_S9_NSB_INS5_IJSE_SG_SI_SI_SG_SG_SK_SK_SG_SN_SN_SP_SP_SR_SG_SG_NSQ_INS5_IJiNS_17integral_constantIiLi128EEEEEELb0EEENSF_INS27_IiLi2EEEEEEEENS5_IJSU_SV_SW_SX_SY_SZ_S10_S11_S12_S13_S14_S15_S16_S17_S18_NST_IJLi19EEEES1G_NST_IJLi20EEEEEEENS5_IJS1A_SZ_S10_S11_S12_S1B_S1C_S1D_S1E_S15_S16_S18_S17_S1F_S1G_NST_IJLi22EEEENST_IJLi23ELi24EEEENST_IJLi25EEEEEEENST_IJLi22ELi23ELi24ELi25EEEElEENSB_INS5_IJSR_SP_SP_SR_SG_SG_S2A_S2C_EEENS5_IJSU_SV_SW_SY_SX_SZ_S11_S10_EEENS5_IJS1M_SX_SY_S1N_S11_S12_NST_IJLi9ELi10EEEENST_IJLi11EEEEEEENST_IJLi8ELi9ELi10ELi11EEEElEENS5_IJNSB_INS5_IJSK_SP_SP_NSQ_INS5_IJiS2B_NS27_IiLi64EEEEEELb0EEES2W_EEENS5_IJSU_SV_SW_SX_SY_EEENS5_IJS1M_SX_SY_NST_IJLi5ELi6ELi7EEEENST_IJLi8ELi9ELi10EEEEEEENST_IJLi5ELi6ELi7ELi8ELi9ELi10EEEElEEEEES33_NS_31BlockToCTileMap_M00_N00_M01_N01ILi128ELi128ES1V_Lb0EEENS1_30ComputePtrOffsetOfStridedBatchILi1ELi1ELi1EvEELb0ELb1EEEvPKT0_S3B_T1_PT2_T3_T4_T5_iT6_T7_T8_T9_T10_T11_,comdat
	.globl	_ZN2ck16tensor_operation6device12_GLOBAL__N_137kernel_grouped_conv_fwd_dl_multiple_dINS_32GridwiseGemmDlMultipleD_km_kn_mnILi256EDF16_fNS_5TupleIJDF16_EEEDF16_NS0_12element_wise11PassThroughES8_NS7_7AddReluELNS_25InMemoryDataOperationEnumE0ENS_16TensorDescriptorINS5_IJNS_5EmbedINS5_IJiiiiEEESD_Lb0EEENS_11PassThroughIiEENS_3PadIiiiLb0EEESI_SG_SG_NSC_INS5_IJiiEEESJ_Lb0EEESK_SG_NS_23Merge_v2_magic_divisionINS5_IJiiiEEEEESN_NS_8RightPadIiiLb0EEESP_NS_7UnMergeISJ_Lb0EEESG_EEENS5_IJNS_8SequenceIJLi0EEEENST_IJLi1EEEENST_IJLi2EEEENST_IJLi3EEEENST_IJLi4EEEENST_IJLi5EEEENST_IJLi6EEEENST_IJLi7EEEENST_IJLi8EEEENST_IJLi9ELi11ELi13EEEENST_IJLi10ELi12ELi14EEEENST_IJLi15EEEENST_IJLi16EEEENST_IJLi18EEEENST_IJLi17EEEEEEENS5_IJNST_IJLi1ELi2ELi3ELi4EEEESZ_S10_S11_S12_NST_IJLi9EEEENST_IJLi10ELi11EEEENST_IJLi12ELi13EEEENST_IJLi14EEEES15_S16_S18_S17_NST_IJLi19ELi20EEEENST_IJLi21EEEEEEENST_IJLi19ELi21ELi20EEEElEENSB_INS5_IJSR_SP_SP_SR_SG_EEENS5_IJSU_SV_SW_SY_SX_EEENS5_IJNST_IJLi1ELi2EEEESX_SY_NST_IJLi5ELi6EEEES11_EEENST_IJLi5ELi7ELi6EEEElEENSB_INS5_IJSK_SP_SP_EEENS5_IJSU_SV_SW_EEENS5_IJS1M_SX_SY_EEENST_IJLi3ELi4EEEElEELi128ELi128ELi16ELi2ELi4ELi4ELi1ENST_IJLi8ELi2EEEES1W_NST_IJLi8ELi1ELi1ELi2EEEENST_IJLi2ELi1ELi128ELi1EEEENST_IJLi1ELi2ELi0ELi3EEEES1Z_NST_IJLi4ELi1ELi1ELi2EEEES1Z_NST_IJLi1ELi1ELi1ELi2EEEES1X_S1Y_S1Z_S1Z_S20_S1Z_S21_NST_IJLi0ELi1ELi2ELi3ELi4ELi5EEEELi5ELi4EEEDF16_NS5_IJPKDF16_EEEDF16_S8_S8_S9_NSB_INS5_IJSE_SG_SI_SI_SG_SG_SK_SK_SG_SN_SN_SP_SP_SR_SG_SG_NSQ_INS5_IJiNS_17integral_constantIiLi128EEEEEELb0EEENSF_INS27_IiLi2EEEEEEEENS5_IJSU_SV_SW_SX_SY_SZ_S10_S11_S12_S13_S14_S15_S16_S17_S18_NST_IJLi19EEEES1G_NST_IJLi20EEEEEEENS5_IJS1A_SZ_S10_S11_S12_S1B_S1C_S1D_S1E_S15_S16_S18_S17_S1F_S1G_NST_IJLi22EEEENST_IJLi23ELi24EEEENST_IJLi25EEEEEEENST_IJLi22ELi23ELi24ELi25EEEElEENSB_INS5_IJSR_SP_SP_SR_SG_SG_S2A_S2C_EEENS5_IJSU_SV_SW_SY_SX_SZ_S11_S10_EEENS5_IJS1M_SX_SY_S1N_S11_S12_NST_IJLi9ELi10EEEENST_IJLi11EEEEEEENST_IJLi8ELi9ELi10ELi11EEEElEENS5_IJNSB_INS5_IJSK_SP_SP_NSQ_INS5_IJiS2B_NS27_IiLi64EEEEEELb0EEES2W_EEENS5_IJSU_SV_SW_SX_SY_EEENS5_IJS1M_SX_SY_NST_IJLi5ELi6ELi7EEEENST_IJLi8ELi9ELi10EEEEEEENST_IJLi5ELi6ELi7ELi8ELi9ELi10EEEElEEEEES33_NS_31BlockToCTileMap_M00_N00_M01_N01ILi128ELi128ES1V_Lb0EEENS1_30ComputePtrOffsetOfStridedBatchILi1ELi1ELi1EvEELb0ELb1EEEvPKT0_S3B_T1_PT2_T3_T4_T5_iT6_T7_T8_T9_T10_T11_ ; -- Begin function _ZN2ck16tensor_operation6device12_GLOBAL__N_137kernel_grouped_conv_fwd_dl_multiple_dINS_32GridwiseGemmDlMultipleD_km_kn_mnILi256EDF16_fNS_5TupleIJDF16_EEEDF16_NS0_12element_wise11PassThroughES8_NS7_7AddReluELNS_25InMemoryDataOperationEnumE0ENS_16TensorDescriptorINS5_IJNS_5EmbedINS5_IJiiiiEEESD_Lb0EEENS_11PassThroughIiEENS_3PadIiiiLb0EEESI_SG_SG_NSC_INS5_IJiiEEESJ_Lb0EEESK_SG_NS_23Merge_v2_magic_divisionINS5_IJiiiEEEEESN_NS_8RightPadIiiLb0EEESP_NS_7UnMergeISJ_Lb0EEESG_EEENS5_IJNS_8SequenceIJLi0EEEENST_IJLi1EEEENST_IJLi2EEEENST_IJLi3EEEENST_IJLi4EEEENST_IJLi5EEEENST_IJLi6EEEENST_IJLi7EEEENST_IJLi8EEEENST_IJLi9ELi11ELi13EEEENST_IJLi10ELi12ELi14EEEENST_IJLi15EEEENST_IJLi16EEEENST_IJLi18EEEENST_IJLi17EEEEEEENS5_IJNST_IJLi1ELi2ELi3ELi4EEEESZ_S10_S11_S12_NST_IJLi9EEEENST_IJLi10ELi11EEEENST_IJLi12ELi13EEEENST_IJLi14EEEES15_S16_S18_S17_NST_IJLi19ELi20EEEENST_IJLi21EEEEEEENST_IJLi19ELi21ELi20EEEElEENSB_INS5_IJSR_SP_SP_SR_SG_EEENS5_IJSU_SV_SW_SY_SX_EEENS5_IJNST_IJLi1ELi2EEEESX_SY_NST_IJLi5ELi6EEEES11_EEENST_IJLi5ELi7ELi6EEEElEENSB_INS5_IJSK_SP_SP_EEENS5_IJSU_SV_SW_EEENS5_IJS1M_SX_SY_EEENST_IJLi3ELi4EEEElEELi128ELi128ELi16ELi2ELi4ELi4ELi1ENST_IJLi8ELi2EEEES1W_NST_IJLi8ELi1ELi1ELi2EEEENST_IJLi2ELi1ELi128ELi1EEEENST_IJLi1ELi2ELi0ELi3EEEES1Z_NST_IJLi4ELi1ELi1ELi2EEEES1Z_NST_IJLi1ELi1ELi1ELi2EEEES1X_S1Y_S1Z_S1Z_S20_S1Z_S21_NST_IJLi0ELi1ELi2ELi3ELi4ELi5EEEELi5ELi4EEEDF16_NS5_IJPKDF16_EEEDF16_S8_S8_S9_NSB_INS5_IJSE_SG_SI_SI_SG_SG_SK_SK_SG_SN_SN_SP_SP_SR_SG_SG_NSQ_INS5_IJiNS_17integral_constantIiLi128EEEEEELb0EEENSF_INS27_IiLi2EEEEEEEENS5_IJSU_SV_SW_SX_SY_SZ_S10_S11_S12_S13_S14_S15_S16_S17_S18_NST_IJLi19EEEES1G_NST_IJLi20EEEEEEENS5_IJS1A_SZ_S10_S11_S12_S1B_S1C_S1D_S1E_S15_S16_S18_S17_S1F_S1G_NST_IJLi22EEEENST_IJLi23ELi24EEEENST_IJLi25EEEEEEENST_IJLi22ELi23ELi24ELi25EEEElEENSB_INS5_IJSR_SP_SP_SR_SG_SG_S2A_S2C_EEENS5_IJSU_SV_SW_SY_SX_SZ_S11_S10_EEENS5_IJS1M_SX_SY_S1N_S11_S12_NST_IJLi9ELi10EEEENST_IJLi11EEEEEEENST_IJLi8ELi9ELi10ELi11EEEElEENS5_IJNSB_INS5_IJSK_SP_SP_NSQ_INS5_IJiS2B_NS27_IiLi64EEEEEELb0EEES2W_EEENS5_IJSU_SV_SW_SX_SY_EEENS5_IJS1M_SX_SY_NST_IJLi5ELi6ELi7EEEENST_IJLi8ELi9ELi10EEEEEEENST_IJLi5ELi6ELi7ELi8ELi9ELi10EEEElEEEEES33_NS_31BlockToCTileMap_M00_N00_M01_N01ILi128ELi128ES1V_Lb0EEENS1_30ComputePtrOffsetOfStridedBatchILi1ELi1ELi1EvEELb0ELb1EEEvPKT0_S3B_T1_PT2_T3_T4_T5_iT6_T7_T8_T9_T10_T11_
	.p2align	8
	.type	_ZN2ck16tensor_operation6device12_GLOBAL__N_137kernel_grouped_conv_fwd_dl_multiple_dINS_32GridwiseGemmDlMultipleD_km_kn_mnILi256EDF16_fNS_5TupleIJDF16_EEEDF16_NS0_12element_wise11PassThroughES8_NS7_7AddReluELNS_25InMemoryDataOperationEnumE0ENS_16TensorDescriptorINS5_IJNS_5EmbedINS5_IJiiiiEEESD_Lb0EEENS_11PassThroughIiEENS_3PadIiiiLb0EEESI_SG_SG_NSC_INS5_IJiiEEESJ_Lb0EEESK_SG_NS_23Merge_v2_magic_divisionINS5_IJiiiEEEEESN_NS_8RightPadIiiLb0EEESP_NS_7UnMergeISJ_Lb0EEESG_EEENS5_IJNS_8SequenceIJLi0EEEENST_IJLi1EEEENST_IJLi2EEEENST_IJLi3EEEENST_IJLi4EEEENST_IJLi5EEEENST_IJLi6EEEENST_IJLi7EEEENST_IJLi8EEEENST_IJLi9ELi11ELi13EEEENST_IJLi10ELi12ELi14EEEENST_IJLi15EEEENST_IJLi16EEEENST_IJLi18EEEENST_IJLi17EEEEEEENS5_IJNST_IJLi1ELi2ELi3ELi4EEEESZ_S10_S11_S12_NST_IJLi9EEEENST_IJLi10ELi11EEEENST_IJLi12ELi13EEEENST_IJLi14EEEES15_S16_S18_S17_NST_IJLi19ELi20EEEENST_IJLi21EEEEEEENST_IJLi19ELi21ELi20EEEElEENSB_INS5_IJSR_SP_SP_SR_SG_EEENS5_IJSU_SV_SW_SY_SX_EEENS5_IJNST_IJLi1ELi2EEEESX_SY_NST_IJLi5ELi6EEEES11_EEENST_IJLi5ELi7ELi6EEEElEENSB_INS5_IJSK_SP_SP_EEENS5_IJSU_SV_SW_EEENS5_IJS1M_SX_SY_EEENST_IJLi3ELi4EEEElEELi128ELi128ELi16ELi2ELi4ELi4ELi1ENST_IJLi8ELi2EEEES1W_NST_IJLi8ELi1ELi1ELi2EEEENST_IJLi2ELi1ELi128ELi1EEEENST_IJLi1ELi2ELi0ELi3EEEES1Z_NST_IJLi4ELi1ELi1ELi2EEEES1Z_NST_IJLi1ELi1ELi1ELi2EEEES1X_S1Y_S1Z_S1Z_S20_S1Z_S21_NST_IJLi0ELi1ELi2ELi3ELi4ELi5EEEELi5ELi4EEEDF16_NS5_IJPKDF16_EEEDF16_S8_S8_S9_NSB_INS5_IJSE_SG_SI_SI_SG_SG_SK_SK_SG_SN_SN_SP_SP_SR_SG_SG_NSQ_INS5_IJiNS_17integral_constantIiLi128EEEEEELb0EEENSF_INS27_IiLi2EEEEEEEENS5_IJSU_SV_SW_SX_SY_SZ_S10_S11_S12_S13_S14_S15_S16_S17_S18_NST_IJLi19EEEES1G_NST_IJLi20EEEEEEENS5_IJS1A_SZ_S10_S11_S12_S1B_S1C_S1D_S1E_S15_S16_S18_S17_S1F_S1G_NST_IJLi22EEEENST_IJLi23ELi24EEEENST_IJLi25EEEEEEENST_IJLi22ELi23ELi24ELi25EEEElEENSB_INS5_IJSR_SP_SP_SR_SG_SG_S2A_S2C_EEENS5_IJSU_SV_SW_SY_SX_SZ_S11_S10_EEENS5_IJS1M_SX_SY_S1N_S11_S12_NST_IJLi9ELi10EEEENST_IJLi11EEEEEEENST_IJLi8ELi9ELi10ELi11EEEElEENS5_IJNSB_INS5_IJSK_SP_SP_NSQ_INS5_IJiS2B_NS27_IiLi64EEEEEELb0EEES2W_EEENS5_IJSU_SV_SW_SX_SY_EEENS5_IJS1M_SX_SY_NST_IJLi5ELi6ELi7EEEENST_IJLi8ELi9ELi10EEEEEEENST_IJLi5ELi6ELi7ELi8ELi9ELi10EEEElEEEEES33_NS_31BlockToCTileMap_M00_N00_M01_N01ILi128ELi128ES1V_Lb0EEENS1_30ComputePtrOffsetOfStridedBatchILi1ELi1ELi1EvEELb0ELb1EEEvPKT0_S3B_T1_PT2_T3_T4_T5_iT6_T7_T8_T9_T10_T11_,@function
_ZN2ck16tensor_operation6device12_GLOBAL__N_137kernel_grouped_conv_fwd_dl_multiple_dINS_32GridwiseGemmDlMultipleD_km_kn_mnILi256EDF16_fNS_5TupleIJDF16_EEEDF16_NS0_12element_wise11PassThroughES8_NS7_7AddReluELNS_25InMemoryDataOperationEnumE0ENS_16TensorDescriptorINS5_IJNS_5EmbedINS5_IJiiiiEEESD_Lb0EEENS_11PassThroughIiEENS_3PadIiiiLb0EEESI_SG_SG_NSC_INS5_IJiiEEESJ_Lb0EEESK_SG_NS_23Merge_v2_magic_divisionINS5_IJiiiEEEEESN_NS_8RightPadIiiLb0EEESP_NS_7UnMergeISJ_Lb0EEESG_EEENS5_IJNS_8SequenceIJLi0EEEENST_IJLi1EEEENST_IJLi2EEEENST_IJLi3EEEENST_IJLi4EEEENST_IJLi5EEEENST_IJLi6EEEENST_IJLi7EEEENST_IJLi8EEEENST_IJLi9ELi11ELi13EEEENST_IJLi10ELi12ELi14EEEENST_IJLi15EEEENST_IJLi16EEEENST_IJLi18EEEENST_IJLi17EEEEEEENS5_IJNST_IJLi1ELi2ELi3ELi4EEEESZ_S10_S11_S12_NST_IJLi9EEEENST_IJLi10ELi11EEEENST_IJLi12ELi13EEEENST_IJLi14EEEES15_S16_S18_S17_NST_IJLi19ELi20EEEENST_IJLi21EEEEEEENST_IJLi19ELi21ELi20EEEElEENSB_INS5_IJSR_SP_SP_SR_SG_EEENS5_IJSU_SV_SW_SY_SX_EEENS5_IJNST_IJLi1ELi2EEEESX_SY_NST_IJLi5ELi6EEEES11_EEENST_IJLi5ELi7ELi6EEEElEENSB_INS5_IJSK_SP_SP_EEENS5_IJSU_SV_SW_EEENS5_IJS1M_SX_SY_EEENST_IJLi3ELi4EEEElEELi128ELi128ELi16ELi2ELi4ELi4ELi1ENST_IJLi8ELi2EEEES1W_NST_IJLi8ELi1ELi1ELi2EEEENST_IJLi2ELi1ELi128ELi1EEEENST_IJLi1ELi2ELi0ELi3EEEES1Z_NST_IJLi4ELi1ELi1ELi2EEEES1Z_NST_IJLi1ELi1ELi1ELi2EEEES1X_S1Y_S1Z_S1Z_S20_S1Z_S21_NST_IJLi0ELi1ELi2ELi3ELi4ELi5EEEELi5ELi4EEEDF16_NS5_IJPKDF16_EEEDF16_S8_S8_S9_NSB_INS5_IJSE_SG_SI_SI_SG_SG_SK_SK_SG_SN_SN_SP_SP_SR_SG_SG_NSQ_INS5_IJiNS_17integral_constantIiLi128EEEEEELb0EEENSF_INS27_IiLi2EEEEEEEENS5_IJSU_SV_SW_SX_SY_SZ_S10_S11_S12_S13_S14_S15_S16_S17_S18_NST_IJLi19EEEES1G_NST_IJLi20EEEEEEENS5_IJS1A_SZ_S10_S11_S12_S1B_S1C_S1D_S1E_S15_S16_S18_S17_S1F_S1G_NST_IJLi22EEEENST_IJLi23ELi24EEEENST_IJLi25EEEEEEENST_IJLi22ELi23ELi24ELi25EEEElEENSB_INS5_IJSR_SP_SP_SR_SG_SG_S2A_S2C_EEENS5_IJSU_SV_SW_SY_SX_SZ_S11_S10_EEENS5_IJS1M_SX_SY_S1N_S11_S12_NST_IJLi9ELi10EEEENST_IJLi11EEEEEEENST_IJLi8ELi9ELi10ELi11EEEElEENS5_IJNSB_INS5_IJSK_SP_SP_NSQ_INS5_IJiS2B_NS27_IiLi64EEEEEELb0EEES2W_EEENS5_IJSU_SV_SW_SX_SY_EEENS5_IJS1M_SX_SY_NST_IJLi5ELi6ELi7EEEENST_IJLi8ELi9ELi10EEEEEEENST_IJLi5ELi6ELi7ELi8ELi9ELi10EEEElEEEEES33_NS_31BlockToCTileMap_M00_N00_M01_N01ILi128ELi128ES1V_Lb0EEENS1_30ComputePtrOffsetOfStridedBatchILi1ELi1ELi1EvEELb0ELb1EEEvPKT0_S3B_T1_PT2_T3_T4_T5_iT6_T7_T8_T9_T10_T11_: ; @_ZN2ck16tensor_operation6device12_GLOBAL__N_137kernel_grouped_conv_fwd_dl_multiple_dINS_32GridwiseGemmDlMultipleD_km_kn_mnILi256EDF16_fNS_5TupleIJDF16_EEEDF16_NS0_12element_wise11PassThroughES8_NS7_7AddReluELNS_25InMemoryDataOperationEnumE0ENS_16TensorDescriptorINS5_IJNS_5EmbedINS5_IJiiiiEEESD_Lb0EEENS_11PassThroughIiEENS_3PadIiiiLb0EEESI_SG_SG_NSC_INS5_IJiiEEESJ_Lb0EEESK_SG_NS_23Merge_v2_magic_divisionINS5_IJiiiEEEEESN_NS_8RightPadIiiLb0EEESP_NS_7UnMergeISJ_Lb0EEESG_EEENS5_IJNS_8SequenceIJLi0EEEENST_IJLi1EEEENST_IJLi2EEEENST_IJLi3EEEENST_IJLi4EEEENST_IJLi5EEEENST_IJLi6EEEENST_IJLi7EEEENST_IJLi8EEEENST_IJLi9ELi11ELi13EEEENST_IJLi10ELi12ELi14EEEENST_IJLi15EEEENST_IJLi16EEEENST_IJLi18EEEENST_IJLi17EEEEEEENS5_IJNST_IJLi1ELi2ELi3ELi4EEEESZ_S10_S11_S12_NST_IJLi9EEEENST_IJLi10ELi11EEEENST_IJLi12ELi13EEEENST_IJLi14EEEES15_S16_S18_S17_NST_IJLi19ELi20EEEENST_IJLi21EEEEEEENST_IJLi19ELi21ELi20EEEElEENSB_INS5_IJSR_SP_SP_SR_SG_EEENS5_IJSU_SV_SW_SY_SX_EEENS5_IJNST_IJLi1ELi2EEEESX_SY_NST_IJLi5ELi6EEEES11_EEENST_IJLi5ELi7ELi6EEEElEENSB_INS5_IJSK_SP_SP_EEENS5_IJSU_SV_SW_EEENS5_IJS1M_SX_SY_EEENST_IJLi3ELi4EEEElEELi128ELi128ELi16ELi2ELi4ELi4ELi1ENST_IJLi8ELi2EEEES1W_NST_IJLi8ELi1ELi1ELi2EEEENST_IJLi2ELi1ELi128ELi1EEEENST_IJLi1ELi2ELi0ELi3EEEES1Z_NST_IJLi4ELi1ELi1ELi2EEEES1Z_NST_IJLi1ELi1ELi1ELi2EEEES1X_S1Y_S1Z_S1Z_S20_S1Z_S21_NST_IJLi0ELi1ELi2ELi3ELi4ELi5EEEELi5ELi4EEEDF16_NS5_IJPKDF16_EEEDF16_S8_S8_S9_NSB_INS5_IJSE_SG_SI_SI_SG_SG_SK_SK_SG_SN_SN_SP_SP_SR_SG_SG_NSQ_INS5_IJiNS_17integral_constantIiLi128EEEEEELb0EEENSF_INS27_IiLi2EEEEEEEENS5_IJSU_SV_SW_SX_SY_SZ_S10_S11_S12_S13_S14_S15_S16_S17_S18_NST_IJLi19EEEES1G_NST_IJLi20EEEEEEENS5_IJS1A_SZ_S10_S11_S12_S1B_S1C_S1D_S1E_S15_S16_S18_S17_S1F_S1G_NST_IJLi22EEEENST_IJLi23ELi24EEEENST_IJLi25EEEEEEENST_IJLi22ELi23ELi24ELi25EEEElEENSB_INS5_IJSR_SP_SP_SR_SG_SG_S2A_S2C_EEENS5_IJSU_SV_SW_SY_SX_SZ_S11_S10_EEENS5_IJS1M_SX_SY_S1N_S11_S12_NST_IJLi9ELi10EEEENST_IJLi11EEEEEEENST_IJLi8ELi9ELi10ELi11EEEElEENS5_IJNSB_INS5_IJSK_SP_SP_NSQ_INS5_IJiS2B_NS27_IiLi64EEEEEELb0EEES2W_EEENS5_IJSU_SV_SW_SX_SY_EEENS5_IJS1M_SX_SY_NST_IJLi5ELi6ELi7EEEENST_IJLi8ELi9ELi10EEEEEEENST_IJLi5ELi6ELi7ELi8ELi9ELi10EEEElEEEEES33_NS_31BlockToCTileMap_M00_N00_M01_N01ILi128ELi128ES1V_Lb0EEENS1_30ComputePtrOffsetOfStridedBatchILi1ELi1ELi1EvEELb0ELb1EEEvPKT0_S3B_T1_PT2_T3_T4_T5_iT6_T7_T8_T9_T10_T11_
; %bb.0:
	s_load_dwordx8 s[8:15], s[4:5], 0x0
	s_load_dword s0, s[4:5], 0x24
	s_load_dwordx4 s[24:27], s[4:5], 0x38
	s_load_dword s64, s[4:5], 0x50
	s_load_dwordx4 s[28:31], s[4:5], 0x4c
	s_load_dword s65, s[4:5], 0x5c
	s_load_dwordx4 s[36:39], s[4:5], 0x58
	s_load_dwordx2 s[48:49], s[4:5], 0x74
	s_load_dwordx2 s[50:51], s[4:5], 0x84
	;; [unrolled: 1-line block ×8, first 2 shown]
	s_waitcnt lgkmcnt(0)
	s_abs_i32 s1, s0
	v_cvt_f32_u32_e32 v1, s1
	s_load_dword s66, s[4:5], 0x100
	s_load_dword s69, s[4:5], 0x128
	s_load_dword s68, s[4:5], 0x138
	s_load_dword s67, s[4:5], 0x144
	s_load_dword s37, s[4:5], 0x150
	s_load_dword s39, s[4:5], 0x160
	s_load_dword s2, s[4:5], 0x2c8
	s_sub_i32 s3, 0, s1
	s_load_dword s7, s[4:5], 0x188
	s_load_dwordx2 s[34:35], s[4:5], 0x198
	s_load_dword s29, s[4:5], 0x1a4
	s_load_dword s31, s[4:5], 0x1b0
	;; [unrolled: 1-line block ×3, first 2 shown]
	v_rcp_iflag_f32_e32 v1, v1
	v_lshrrev_b32_e32 v22, 1, v0
	s_waitcnt lgkmcnt(0)
	s_xor_b32 s0, s2, s0
	s_abs_i32 s2, s2
	v_mul_f32_e32 v1, 0x4f7ffffe, v1
	v_cvt_u32_f32_e32 v1, v1
	s_ashr_i32 s0, s0, 31
	v_readfirstlane_b32 s16, v1
	s_mul_i32 s3, s3, s16
	s_mul_hi_u32 s3, s16, s3
	s_add_i32 s16, s16, s3
	s_mul_hi_u32 s3, s2, s16
	s_mul_i32 s16, s3, s1
	s_sub_i32 s2, s2, s16
	s_add_i32 s16, s3, 1
	s_sub_i32 s17, s2, s1
	s_cmp_ge_u32 s2, s1
	s_cselect_b32 s3, s16, s3
	s_cselect_b32 s2, s17, s2
	s_add_i32 s16, s3, 1
	s_cmp_ge_u32 s2, s1
	s_cselect_b32 s1, s16, s3
	s_xor_b32 s1, s1, s0
	s_sub_i32 s71, s1, s0
	s_abs_i32 s72, s71
	v_cvt_f32_u32_e32 v1, s72
	s_sub_i32 s75, 0, s72
	s_abs_i32 s73, s6
	s_xor_b32 s71, s6, s71
	v_rcp_iflag_f32_e32 v1, v1
	s_ashr_i32 s71, s71, 31
	s_load_dword s74, s[4:5], 0x244
	s_load_dword s70, s[4:5], 0x254
	s_load_dwordx4 s[0:3], s[4:5], 0x260
	s_load_dwordx4 s[40:43], s[4:5], 0x274
	;; [unrolled: 1-line block ×3, first 2 shown]
	s_load_dwordx8 s[16:23], s[4:5], 0x2a0
	v_mul_f32_e32 v1, 0x4f7ffffe, v1
	v_cvt_u32_f32_e32 v1, v1
	v_readfirstlane_b32 s76, v1
	s_mul_i32 s75, s75, s76
	s_mul_hi_u32 s75, s76, s75
	s_add_i32 s76, s76, s75
	s_mul_hi_u32 s75, s73, s76
	s_mul_i32 s76, s75, s72
	s_sub_i32 s73, s73, s76
	s_add_i32 s76, s75, 1
	s_sub_i32 s77, s73, s72
	s_cmp_ge_u32 s73, s72
	s_cselect_b32 s75, s76, s75
	s_cselect_b32 s73, s77, s73
	s_add_i32 s76, s75, 1
	s_cmp_ge_u32 s73, s72
	s_cselect_b32 s72, s76, s75
	s_xor_b32 s72, s72, s71
	s_sub_i32 s71, s72, s71
	s_ashr_i32 s75, s71, 31
	s_waitcnt lgkmcnt(0)
	s_mul_i32 s72, s16, s75
	s_mul_hi_u32 s73, s16, s71
	s_add_i32 s72, s73, s72
	s_mul_i32 s17, s17, s71
	s_add_i32 s73, s72, s17
	s_mul_i32 s72, s16, s71
	s_mul_i32 s16, s18, s75
	s_mul_hi_u32 s17, s18, s71
	s_add_i32 s16, s17, s16
	s_mul_i32 s17, s19, s71
	s_add_i32 s19, s16, s17
	s_mul_i32 s16, s22, s75
	s_mul_hi_u32 s17, s22, s71
	s_add_i32 s16, s17, s16
	s_mul_i32 s17, s23, s71
	s_add_i32 s23, s16, s17
	;; [unrolled: 5-line block ×3, first 2 shown]
	s_mul_i32 s16, s20, s71
	s_lshl_b64 s[16:17], s[16:17], 1
	s_add_u32 s16, s12, s16
	s_addc_u32 s17, s13, s17
	s_lshl_b64 s[12:13], s[72:73], 1
	s_mul_i32 s18, s18, s71
	s_add_u32 s12, s8, s12
	s_addc_u32 s13, s9, s13
	s_lshl_b64 s[8:9], s[18:19], 1
	s_mul_i32 s22, s22, s71
	s_add_u32 s20, s10, s8
	s_addc_u32 s10, s11, s9
	s_lshl_b64 s[8:9], s[22:23], 1
	s_add_u32 s8, s14, s8
	s_mul_hi_u32 s11, s43, s6
	s_addc_u32 s9, s15, s9
	s_add_i32 s11, s6, s11
	s_lshr_b32 s11, s11, s47
	s_mul_hi_u32 s14, s11, s42
	s_add_i32 s14, s11, s14
	s_lshr_b32 s14, s14, s46
	s_mul_i32 s2, s14, s2
	s_mul_i32 s3, s11, s3
	s_sub_i32 s2, s11, s2
	s_mul_hi_u32 s11, s14, s41
	s_add_i32 s11, s14, s11
	v_lshlrev_b32_e32 v1, 3, v0
	s_lshr_b32 s15, s11, s45
	v_and_b32_e32 v20, 8, v1
	s_mul_hi_u32 s11, s15, s40
	v_mul_lo_u32 v21, s66, v20
	s_add_i32 s11, s15, s11
	s_lshr_b32 s11, s11, s44
	s_mul_i32 s11, s11, s0
	s_sub_i32 s0, s15, s11
	v_mul_hi_u32 v1, v21, s57
	s_mul_i32 s0, s0, s74
	s_add_i32 s2, s2, s0
	s_lshl_b32 s11, s2, 7
	v_or_b32_e32 v23, s11, v22
	v_add_u32_e32 v1, v21, v1
	v_lshrrev_b32_e32 v1, s55, v1
	v_mul_hi_u32 v3, v23, s63
	v_mul_hi_u32 v2, v1, s56
	v_mul_lo_u32 v4, v1, s53
	s_sub_i32 s6, s6, s3
	v_add_u32_e32 v3, v23, v3
	v_add_u32_e32 v2, v1, v2
	v_lshrrev_b32_e32 v3, s61, v3
	v_mul_hi_u32 v5, v3, s62
	v_lshrrev_b32_e32 v6, s54, v2
	v_mul_lo_u32 v2, v6, s52
	v_mul_lo_u32 v7, v3, s59
	v_add_u32_e32 v5, v3, v5
	v_lshrrev_b32_e32 v5, s60, v5
	v_sub_u32_e32 v9, v1, v2
	v_mul_lo_u32 v8, v5, s58
	v_mul_lo_u32 v1, v9, s50
	;; [unrolled: 1-line block ×3, first 2 shown]
	v_sub_u32_e32 v7, v23, v7
	v_sub_u32_e32 v3, v3, v8
	s_mul_i32 s15, s15, s1
	v_mad_u64_u32 v[17:18], s[2:3], v7, s51, v[1:2]
	v_mad_u64_u32 v[18:19], s[2:3], v3, s49, v[2:3]
	v_sub_u32_e32 v7, v21, v4
	v_mul_lo_u32 v3, v5, s24
	v_subrev_u32_e32 v1, s64, v18
	v_mul_lo_u32 v4, v1, s25
	v_mul_lo_u32 v1, v7, s27
	v_or_b32_e32 v5, 4, v20
	v_mul_lo_u32 v24, s66, v5
	v_subrev_u32_e32 v2, s65, v17
	v_mad_u64_u32 v[1:2], s[0:1], v2, s26, v[1:2]
	v_mul_hi_u32 v2, v24, s57
	s_sub_i32 s0, s14, s15
	v_add3_u32 v8, v1, v3, v4
	s_mul_i32 s0, s0, s70
	v_add_u32_e32 v1, v24, v2
	v_lshrrev_b32_e32 v5, s55, v1
	v_mul_hi_u32 v1, v5, s56
	v_mul_lo_u32 v10, v5, s53
	s_lshl_b32 s14, s69, 1
	s_and_b32 s13, s13, 0xffff
	v_add_u32_e32 v1, v5, v1
	v_lshrrev_b32_e32 v25, s54, v1
	v_mul_lo_u32 v11, v25, s52
	v_sub_u32_e32 v26, v24, v10
	v_sub_u32_e32 v7, v26, v7
	;; [unrolled: 1-line block ×5, first 2 shown]
	v_mul_lo_u32 v28, v5, s50
	v_mul_lo_u32 v29, v6, s48
	;; [unrolled: 1-line block ×3, first 2 shown]
	s_mov_b32 s15, 0x20000
	v_lshlrev_b32_e32 v2, 1, v8
	buffer_load_dwordx4 v[1:4], v2, s[12:15], 0 offen
	s_add_i32 s6, s6, s0
	v_mul_lo_u32 v7, v28, s26
	v_mad_u64_u32 v[5:6], s[0:1], v29, s25, v[5:6]
	v_mul_lo_u32 v19, s39, v20
	s_lshl_b32 s18, s6, 7
	v_add3_u32 v31, v5, v7, v8
	v_lshlrev_b32_e32 v5, 1, v31
	buffer_load_dwordx4 v[5:8], v5, s[12:15], 0 offen
	v_or_b32_e32 v30, s18, v22
	v_mad_u64_u32 v[13:14], s[0:1], v30, s68, v[19:20]
	s_lshl_b32 s22, s7, 1
	s_and_b32 s21, s10, 0xffff
	s_mov_b32 s23, s15
	v_lshlrev_b32_e32 v9, 1, v13
	s_lshl_b32 s19, s39, 2
	buffer_load_dwordx4 v[9:12], v9, s[20:23], 0 offen
	v_add_u32_e32 v32, s19, v13
	v_lshlrev_b32_e32 v13, 1, v32
	buffer_load_dwordx4 v[13:16], v13, s[20:23], 0 offen
	s_load_dword s24, s[4:5], 0xf0
	s_load_dword s2, s[4:5], 0xe4
	s_sub_i32 s36, s36, s38
	v_cmp_gt_i32_e64 s[6:7], s36, v17
	s_sub_i32 s28, s28, s30
	s_waitcnt lgkmcnt(0)
	v_cmp_gt_i32_e64 s[0:1], s24, v21
	v_cmp_gt_i32_e32 vcc, s2, v23
	v_cmp_le_i32_e64 s[2:3], s65, v17
	s_and_b64 s[0:1], s[6:7], s[0:1]
	s_and_b64 s[6:7], s[0:1], s[2:3]
	v_cmp_le_i32_e64 s[0:1], s64, v18
	v_cmp_gt_i32_e64 s[2:3], s28, v18
	s_and_b64 s[0:1], s[0:1], s[2:3]
	s_and_b64 s[0:1], s[6:7], s[0:1]
	s_and_b64 s[0:1], vcc, s[0:1]
	v_add_u32_e32 v28, v17, v28
	v_cmp_gt_i32_e64 s[6:7], s36, v28
	v_add_u32_e32 v29, v18, v29
	v_cmp_le_i32_e64 s[2:3], s65, v28
	s_mul_i32 s39, s39, 12
	s_and_b32 s17, s17, 0xffff
	s_and_b32 s9, s9, 0xffff
	s_waitcnt vmcnt(3)
	v_cndmask_b32_e64 v21, 0, v4, s[0:1]
	v_cndmask_b32_e64 v3, 0, v3, s[0:1]
	;; [unrolled: 1-line block ×4, first 2 shown]
	v_cmp_gt_i32_e64 s[0:1], s24, v24
	s_and_b64 s[0:1], s[6:7], s[0:1]
	s_and_b64 s[6:7], s[0:1], s[2:3]
	v_cmp_le_i32_e64 s[0:1], s64, v29
	v_cmp_gt_i32_e64 s[2:3], s28, v29
	s_and_b64 s[0:1], s[0:1], s[2:3]
	s_and_b64 s[0:1], s[6:7], s[0:1]
	s_and_b64 s[0:1], vcc, s[0:1]
	v_or_b32_e32 v4, 16, v20
	s_waitcnt vmcnt(2)
	v_cndmask_b32_e64 v8, 0, v8, s[0:1]
	v_cndmask_b32_e64 v7, 0, v7, s[0:1]
	;; [unrolled: 1-line block ×4, first 2 shown]
	v_cmp_gt_i32_e64 s[0:1], s67, v30
	v_mul_lo_u32 v30, s66, v4
	v_lshlrev_b32_e32 v4, 2, v22
	v_lshl_or_b32 v4, v20, 9, v4
	ds_write2st64_b32 v4, v1, v2 offset1:2
	ds_write2st64_b32 v4, v3, v21 offset0:4 offset1:6
	v_mul_hi_u32 v17, v30, s57
	ds_write2st64_b32 v4, v5, v6 offset0:8 offset1:10
	ds_write2st64_b32 v4, v7, v8 offset0:12 offset1:14
	v_cmp_gt_i32_e64 s[2:3], s37, v19
	s_and_b64 s[2:3], s[2:3], s[0:1]
	v_add_u32_e32 v1, v30, v17
	v_lshrrev_b32_e32 v2, s55, v1
	v_mul_hi_u32 v1, v2, s56
	v_mul_lo_u32 v3, v2, s53
	v_add_u32_e32 v24, s19, v19
	s_waitcnt vmcnt(1)
	v_cndmask_b32_e64 v12, 0, v12, s[2:3]
	v_add_u32_e32 v1, v2, v1
	v_lshrrev_b32_e32 v7, s54, v1
	v_mul_lo_u32 v5, v7, s52
	v_sub_u32_e32 v1, v30, v3
	v_sub_u32_e32 v3, v1, v26
	;; [unrolled: 1-line block ×3, first 2 shown]
	v_mul_lo_u32 v26, v6, s48
	v_mul_lo_u32 v3, v3, s27
	v_cndmask_b32_e64 v11, 0, v11, s[2:3]
	v_cndmask_b32_e64 v10, 0, v10, s[2:3]
	;; [unrolled: 1-line block ×3, first 2 shown]
	v_cmp_gt_i32_e64 s[2:3], s37, v24
	v_sub_u32_e32 v2, v2, v5
	s_and_b64 s[2:3], s[2:3], s[0:1]
	v_sub_u32_e32 v5, v2, v27
	v_lshl_add_u32 v27, s66, 2, v30
	s_waitcnt vmcnt(0)
	v_cndmask_b32_e64 v16, 0, v16, s[2:3]
	v_cndmask_b32_e64 v15, 0, v15, s[2:3]
	;; [unrolled: 1-line block ×4, first 2 shown]
	v_mul_lo_u32 v25, v5, s50
	v_mad_u64_u32 v[5:6], s[2:3], v26, s25, v[3:4]
	v_mul_hi_u32 v3, v27, s57
	ds_write2st64_b32 v4, v9, v10 offset0:64 offset1:66
	ds_write2st64_b32 v4, v11, v12 offset0:68 offset1:70
	;; [unrolled: 1-line block ×4, first 2 shown]
	v_add_u32_e32 v3, v27, v3
	v_lshrrev_b32_e32 v13, s55, v3
	v_mul_hi_u32 v3, v13, s56
	v_mul_lo_u32 v8, v25, s26
	s_waitcnt lgkmcnt(0)
	s_barrier
	v_add_u32_e32 v3, v13, v3
	v_lshrrev_b32_e32 v14, s54, v3
	v_mad_u64_u32 v[2:3], s[2:3], v14, s52, v[2:3]
	v_add3_u32 v12, v5, v8, v31
	v_lshlrev_b32_e32 v5, 1, v12
	buffer_load_dwordx4 v[8:11], v5, s[12:15], 0 offen
	v_mad_u64_u32 v[5:6], s[2:3], v13, s53, v[1:2]
	v_sub_u32_e32 v1, v13, v2
	v_sub_u32_e32 v2, v14, v7
	v_mul_lo_u32 v2, v2, s48
	v_mul_lo_u32 v3, v1, s50
	v_sub_u32_e32 v1, v27, v5
	v_mul_lo_u32 v1, v1, s27
	v_mul_lo_u32 v5, v2, s25
	;; [unrolled: 1-line block ×3, first 2 shown]
	v_add_u32_e32 v25, v28, v25
	v_cmp_gt_i32_e64 s[2:3], s24, v30
	v_cmp_gt_i32_e64 s[6:7], s36, v25
	v_add3_u32 v1, v5, v1, v6
	v_add_lshl_u32 v1, v1, v12, 1
	buffer_load_dwordx4 v[12:15], v1, s[12:15], 0 offen
	v_add_u32_e32 v1, s39, v32
	v_lshlrev_b32_e32 v5, 1, v1
	buffer_load_dwordx4 v[16:19], v5, s[20:23], 0 offen
	v_add_lshl_u32 v1, v1, s19, 1
	buffer_load_dwordx4 v[20:23], v1, s[20:23], 0 offen
	s_load_dwordx2 s[12:13], s[4:5], 0x1e8
	s_load_dword s14, s[4:5], 0x1f4
	s_load_dword s20, s[4:5], 0x200
	;; [unrolled: 1-line block ×3, first 2 shown]
	v_add_u32_e32 v26, v29, v26
	v_cmp_le_i32_e64 s[4:5], s65, v25
	s_and_b64 s[2:3], s[6:7], s[2:3]
	s_and_b64 s[6:7], s[2:3], s[4:5]
	v_cmp_le_i32_e64 s[2:3], s64, v26
	v_cmp_gt_i32_e64 s[4:5], s28, v26
	v_lshrrev_b32_e32 v1, 5, v0
	v_lshlrev_b32_e32 v6, 1, v0
	s_and_b64 s[2:3], s[2:3], s[4:5]
	v_lshlrev_b32_e32 v5, 6, v1
	v_and_b32_e32 v7, 0x1f8, v6
	s_and_b64 s[2:3], s[6:7], s[2:3]
	v_sub_u32_e32 v5, v7, v5
	v_lshlrev_b32_e32 v0, 2, v0
	v_lshlrev_b32_e32 v1, 3, v1
	s_and_b64 s[2:3], vcc, s[2:3]
	v_add_u32_e32 v3, v25, v3
	v_and_or_b32 v0, v0, 4, v5
	v_and_or_b32 v1, v6, 4, v1
	v_cmp_gt_i32_e64 s[6:7], s36, v3
	v_add_u32_e32 v2, v26, v2
	v_cmp_le_i32_e64 s[4:5], s65, v3
	v_add_u32_e32 v24, s39, v24
	v_lshlrev_b32_e32 v3, 2, v0
	s_waitcnt lgkmcnt(0)
	s_lshl_b32 s10, s10, 1
	s_waitcnt vmcnt(3)
	v_cndmask_b32_e64 v5, 0, v11, s[2:3]
	v_cndmask_b32_e64 v6, 0, v10, s[2:3]
	;; [unrolled: 1-line block ×4, first 2 shown]
	v_cmp_gt_i32_e64 s[2:3], s24, v27
	s_and_b64 s[2:3], s[6:7], s[2:3]
	s_and_b64 s[6:7], s[2:3], s[4:5]
	v_cmp_le_i32_e64 s[2:3], s64, v2
	v_cmp_gt_i32_e64 s[4:5], s28, v2
	s_and_b64 s[2:3], s[2:3], s[4:5]
	s_and_b64 s[2:3], s[6:7], s[2:3]
	s_and_b64 vcc, vcc, s[2:3]
	v_add_u32_e32 v2, s19, v24
	ds_read_b128 v[26:29], v3 offset:16384
	s_mov_b32 s19, s15
	s_lshl_b32 s6, s35, 6
	s_waitcnt vmcnt(2)
	v_cndmask_b32_e32 v9, 0, v15, vcc
	v_cndmask_b32_e32 v10, 0, v14, vcc
	;; [unrolled: 1-line block ×4, first 2 shown]
	v_cmp_gt_i32_e32 vcc, s37, v24
	s_and_b64 vcc, vcc, s[0:1]
	s_waitcnt vmcnt(1)
	v_cndmask_b32_e32 v13, 0, v19, vcc
	v_cndmask_b32_e32 v14, 0, v18, vcc
	;; [unrolled: 1-line block ×4, first 2 shown]
	v_cmp_gt_i32_e32 vcc, s37, v2
	s_and_b64 vcc, vcc, s[0:1]
	v_lshlrev_b32_e32 v2, 2, v1
	s_waitcnt vmcnt(0)
	v_cndmask_b32_e32 v17, 0, v23, vcc
	v_cndmask_b32_e32 v18, 0, v22, vcc
	ds_read_b128 v[22:25], v2
	ds_read_b128 v[30:33], v3 offset:16640
	ds_read_b128 v[34:37], v2 offset:256
	v_cndmask_b32_e32 v19, 0, v21, vcc
	v_cndmask_b32_e32 v20, 0, v20, vcc
	s_waitcnt lgkmcnt(2)
	v_dot2_f32_f16 v38, v22, v26, 0
	v_dot2_f32_f16 v39, v22, v27, 0
	;; [unrolled: 1-line block ×16, first 2 shown]
	s_waitcnt lgkmcnt(1)
	v_dot2_f32_f16 v54, v22, v30, 0
	v_dot2_f32_f16 v55, v22, v31, 0
	;; [unrolled: 1-line block ×16, first 2 shown]
	ds_read_b128 v[21:24], v2 offset:512
	s_waitcnt lgkmcnt(1)
	v_dot2_f32_f16 v70, v34, v26, 0
	v_dot2_f32_f16 v71, v34, v27, 0
	;; [unrolled: 1-line block ×16, first 2 shown]
	ds_read_b128 v[25:28], v3 offset:16896
	v_dot2_f32_f16 v86, v34, v30, 0
	v_dot2_f32_f16 v87, v34, v31, 0
	;; [unrolled: 1-line block ×16, first 2 shown]
	ds_read_b128 v[29:32], v3 offset:17152
	ds_read_b128 v[33:36], v2 offset:768
	s_waitcnt lgkmcnt(2)
	v_dot2_f32_f16 v38, v21, v25, v38
	v_dot2_f32_f16 v39, v21, v26, v39
	;; [unrolled: 1-line block ×16, first 2 shown]
	s_waitcnt lgkmcnt(1)
	v_dot2_f32_f16 v54, v21, v29, v54
	v_dot2_f32_f16 v55, v21, v30, v55
	;; [unrolled: 1-line block ×16, first 2 shown]
	ds_read_b128 v[21:24], v2 offset:1024
	s_waitcnt lgkmcnt(1)
	v_dot2_f32_f16 v70, v33, v25, v70
	v_dot2_f32_f16 v71, v33, v26, v71
	;; [unrolled: 1-line block ×16, first 2 shown]
	ds_read_b128 v[25:28], v3 offset:17408
	v_dot2_f32_f16 v86, v33, v29, v86
	v_dot2_f32_f16 v87, v33, v30, v87
	;; [unrolled: 1-line block ×16, first 2 shown]
	ds_read_b128 v[29:32], v3 offset:17664
	ds_read_b128 v[33:36], v2 offset:1280
	s_waitcnt lgkmcnt(2)
	v_dot2_f32_f16 v38, v21, v25, v38
	v_dot2_f32_f16 v39, v21, v26, v39
	;; [unrolled: 1-line block ×16, first 2 shown]
	s_waitcnt lgkmcnt(1)
	v_dot2_f32_f16 v54, v21, v29, v54
	v_dot2_f32_f16 v55, v21, v30, v55
	;; [unrolled: 1-line block ×16, first 2 shown]
	ds_read_b128 v[21:24], v2 offset:1536
	s_waitcnt lgkmcnt(1)
	v_dot2_f32_f16 v70, v33, v25, v70
	v_dot2_f32_f16 v71, v33, v26, v71
	;; [unrolled: 1-line block ×16, first 2 shown]
	ds_read_b128 v[25:28], v3 offset:17920
	v_dot2_f32_f16 v86, v33, v29, v86
	v_dot2_f32_f16 v87, v33, v30, v87
	v_dot2_f32_f16 v88, v33, v31, v88
	v_dot2_f32_f16 v89, v33, v32, v89
	v_dot2_f32_f16 v90, v34, v29, v90
	v_dot2_f32_f16 v91, v34, v30, v91
	v_dot2_f32_f16 v92, v34, v31, v92
	v_dot2_f32_f16 v93, v34, v32, v93
	v_dot2_f32_f16 v94, v35, v29, v94
	v_dot2_f32_f16 v95, v35, v30, v95
	v_dot2_f32_f16 v96, v35, v31, v96
	v_dot2_f32_f16 v97, v35, v32, v97
	v_dot2_f32_f16 v98, v36, v29, v98
	v_dot2_f32_f16 v99, v36, v30, v99
	v_dot2_f32_f16 v100, v36, v31, v100
	v_dot2_f32_f16 v37, v36, v32, v37
	ds_read_b128 v[29:32], v3 offset:18176
	ds_read_b128 v[33:36], v2 offset:1792
	s_waitcnt lgkmcnt(2)
	v_dot2_f32_f16 v38, v21, v25, v38
	v_dot2_f32_f16 v39, v21, v26, v39
	;; [unrolled: 1-line block ×16, first 2 shown]
	s_waitcnt lgkmcnt(1)
	v_dot2_f32_f16 v54, v21, v29, v54
	v_dot2_f32_f16 v55, v21, v30, v55
	;; [unrolled: 1-line block ×16, first 2 shown]
	ds_read_b128 v[21:24], v2 offset:2048
	s_waitcnt lgkmcnt(1)
	v_dot2_f32_f16 v70, v33, v25, v70
	v_dot2_f32_f16 v71, v33, v26, v71
	;; [unrolled: 1-line block ×16, first 2 shown]
	ds_read_b128 v[25:28], v3 offset:18432
	v_dot2_f32_f16 v86, v33, v29, v86
	v_dot2_f32_f16 v87, v33, v30, v87
	;; [unrolled: 1-line block ×16, first 2 shown]
	ds_read_b128 v[29:32], v3 offset:18688
	ds_read_b128 v[33:36], v2 offset:2304
	s_waitcnt lgkmcnt(2)
	v_dot2_f32_f16 v38, v21, v25, v38
	v_dot2_f32_f16 v39, v21, v26, v39
	;; [unrolled: 1-line block ×16, first 2 shown]
	s_waitcnt lgkmcnt(1)
	v_dot2_f32_f16 v54, v21, v29, v54
	v_dot2_f32_f16 v55, v21, v30, v55
	;; [unrolled: 1-line block ×16, first 2 shown]
	ds_read_b128 v[21:24], v2 offset:2560
	s_waitcnt lgkmcnt(1)
	v_dot2_f32_f16 v70, v33, v25, v70
	v_dot2_f32_f16 v71, v33, v26, v71
	;; [unrolled: 1-line block ×16, first 2 shown]
	ds_read_b128 v[25:28], v3 offset:18944
	v_dot2_f32_f16 v86, v33, v29, v86
	v_dot2_f32_f16 v87, v33, v30, v87
	;; [unrolled: 1-line block ×16, first 2 shown]
	ds_read_b128 v[29:32], v3 offset:19200
	ds_read_b128 v[33:36], v2 offset:2816
	s_waitcnt lgkmcnt(2)
	v_dot2_f32_f16 v38, v21, v25, v38
	v_dot2_f32_f16 v39, v21, v26, v39
	;; [unrolled: 1-line block ×16, first 2 shown]
	s_waitcnt lgkmcnt(1)
	v_dot2_f32_f16 v54, v21, v29, v54
	v_dot2_f32_f16 v55, v21, v30, v55
	v_dot2_f32_f16 v56, v21, v31, v56
	v_dot2_f32_f16 v57, v21, v32, v57
	v_dot2_f32_f16 v58, v22, v29, v58
	v_dot2_f32_f16 v59, v22, v30, v59
	v_dot2_f32_f16 v60, v22, v31, v60
	v_dot2_f32_f16 v61, v22, v32, v61
	v_dot2_f32_f16 v62, v23, v29, v62
	v_dot2_f32_f16 v63, v23, v30, v63
	v_dot2_f32_f16 v64, v23, v31, v64
	v_dot2_f32_f16 v65, v23, v32, v65
	v_dot2_f32_f16 v66, v24, v29, v66
	v_dot2_f32_f16 v67, v24, v30, v67
	v_dot2_f32_f16 v68, v24, v31, v68
	v_dot2_f32_f16 v69, v24, v32, v69
	ds_read_b128 v[21:24], v2 offset:3072
	s_waitcnt lgkmcnt(1)
	v_dot2_f32_f16 v70, v33, v25, v70
	v_dot2_f32_f16 v71, v33, v26, v71
	;; [unrolled: 1-line block ×16, first 2 shown]
	ds_read_b128 v[25:28], v3 offset:19456
	v_dot2_f32_f16 v86, v33, v29, v86
	v_dot2_f32_f16 v87, v33, v30, v87
	;; [unrolled: 1-line block ×16, first 2 shown]
	ds_read_b128 v[29:32], v3 offset:19712
	ds_read_b128 v[33:36], v2 offset:3328
	s_waitcnt lgkmcnt(2)
	v_dot2_f32_f16 v38, v21, v25, v38
	v_dot2_f32_f16 v39, v21, v26, v39
	;; [unrolled: 1-line block ×16, first 2 shown]
	s_waitcnt lgkmcnt(1)
	v_dot2_f32_f16 v54, v21, v29, v54
	v_dot2_f32_f16 v55, v21, v30, v55
	;; [unrolled: 1-line block ×16, first 2 shown]
	ds_read_b128 v[21:24], v2 offset:3584
	s_waitcnt lgkmcnt(1)
	v_dot2_f32_f16 v70, v33, v25, v70
	v_dot2_f32_f16 v71, v33, v26, v71
	;; [unrolled: 1-line block ×16, first 2 shown]
	ds_read_b128 v[25:28], v3 offset:19968
	v_dot2_f32_f16 v86, v33, v29, v86
	v_dot2_f32_f16 v87, v33, v30, v87
	;; [unrolled: 1-line block ×16, first 2 shown]
	ds_read_b128 v[29:32], v3 offset:20224
	ds_read_b128 v[33:36], v2 offset:3840
	s_waitcnt lgkmcnt(2)
	v_dot2_f32_f16 v38, v21, v25, v38
	v_dot2_f32_f16 v39, v21, v26, v39
	v_dot2_f32_f16 v40, v21, v27, v40
	v_dot2_f32_f16 v41, v21, v28, v41
	v_dot2_f32_f16 v42, v22, v25, v42
	v_dot2_f32_f16 v43, v22, v26, v43
	v_dot2_f32_f16 v44, v22, v27, v44
	v_dot2_f32_f16 v45, v22, v28, v45
	v_dot2_f32_f16 v46, v23, v25, v46
	v_dot2_f32_f16 v47, v23, v26, v47
	v_dot2_f32_f16 v48, v23, v27, v48
	v_dot2_f32_f16 v49, v23, v28, v49
	v_dot2_f32_f16 v50, v24, v25, v50
	v_dot2_f32_f16 v51, v24, v26, v51
	v_dot2_f32_f16 v52, v24, v27, v52
	v_dot2_f32_f16 v53, v24, v28, v53
	s_waitcnt lgkmcnt(1)
	v_dot2_f32_f16 v54, v21, v29, v54
	v_dot2_f32_f16 v55, v21, v30, v55
	;; [unrolled: 1-line block ×16, first 2 shown]
	ds_read_b128 v[21:24], v2 offset:4096
	s_waitcnt lgkmcnt(1)
	v_dot2_f32_f16 v70, v33, v25, v70
	v_dot2_f32_f16 v71, v33, v26, v71
	;; [unrolled: 1-line block ×16, first 2 shown]
	ds_read_b128 v[25:28], v3 offset:20480
	v_dot2_f32_f16 v86, v33, v29, v86
	v_dot2_f32_f16 v87, v33, v30, v87
	;; [unrolled: 1-line block ×16, first 2 shown]
	ds_read_b128 v[29:32], v3 offset:20736
	ds_read_b128 v[33:36], v2 offset:4352
	s_waitcnt lgkmcnt(2)
	v_dot2_f32_f16 v38, v21, v25, v38
	v_dot2_f32_f16 v39, v21, v26, v39
	v_dot2_f32_f16 v40, v21, v27, v40
	v_dot2_f32_f16 v41, v21, v28, v41
	v_dot2_f32_f16 v42, v22, v25, v42
	v_dot2_f32_f16 v43, v22, v26, v43
	v_dot2_f32_f16 v44, v22, v27, v44
	v_dot2_f32_f16 v45, v22, v28, v45
	v_dot2_f32_f16 v46, v23, v25, v46
	v_dot2_f32_f16 v47, v23, v26, v47
	v_dot2_f32_f16 v48, v23, v27, v48
	v_dot2_f32_f16 v49, v23, v28, v49
	v_dot2_f32_f16 v50, v24, v25, v50
	v_dot2_f32_f16 v51, v24, v26, v51
	v_dot2_f32_f16 v52, v24, v27, v52
	v_dot2_f32_f16 v53, v24, v28, v53
	s_waitcnt lgkmcnt(1)
	v_dot2_f32_f16 v54, v21, v29, v54
	v_dot2_f32_f16 v55, v21, v30, v55
	;; [unrolled: 1-line block ×16, first 2 shown]
	ds_read_b128 v[21:24], v2 offset:4608
	s_waitcnt lgkmcnt(1)
	v_dot2_f32_f16 v70, v33, v25, v70
	v_dot2_f32_f16 v71, v33, v26, v71
	;; [unrolled: 1-line block ×16, first 2 shown]
	ds_read_b128 v[25:28], v3 offset:20992
	v_dot2_f32_f16 v86, v33, v29, v86
	v_dot2_f32_f16 v87, v33, v30, v87
	;; [unrolled: 1-line block ×16, first 2 shown]
	ds_read_b128 v[29:32], v3 offset:21248
	ds_read_b128 v[33:36], v2 offset:4864
	s_waitcnt lgkmcnt(2)
	v_dot2_f32_f16 v38, v21, v25, v38
	v_dot2_f32_f16 v39, v21, v26, v39
	;; [unrolled: 1-line block ×16, first 2 shown]
	s_waitcnt lgkmcnt(1)
	v_dot2_f32_f16 v54, v21, v29, v54
	v_dot2_f32_f16 v55, v21, v30, v55
	;; [unrolled: 1-line block ×16, first 2 shown]
	ds_read_b128 v[21:24], v2 offset:5120
	s_waitcnt lgkmcnt(1)
	v_dot2_f32_f16 v70, v33, v25, v70
	v_dot2_f32_f16 v71, v33, v26, v71
	;; [unrolled: 1-line block ×16, first 2 shown]
	ds_read_b128 v[25:28], v3 offset:21504
	v_dot2_f32_f16 v86, v33, v29, v86
	v_dot2_f32_f16 v87, v33, v30, v87
	;; [unrolled: 1-line block ×16, first 2 shown]
	ds_read_b128 v[29:32], v3 offset:21760
	ds_read_b128 v[33:36], v2 offset:5376
	s_waitcnt lgkmcnt(2)
	v_dot2_f32_f16 v38, v21, v25, v38
	v_dot2_f32_f16 v39, v21, v26, v39
	;; [unrolled: 1-line block ×16, first 2 shown]
	s_waitcnt lgkmcnt(1)
	v_dot2_f32_f16 v54, v21, v29, v54
	v_dot2_f32_f16 v55, v21, v30, v55
	v_dot2_f32_f16 v56, v21, v31, v56
	v_dot2_f32_f16 v57, v21, v32, v57
	v_dot2_f32_f16 v58, v22, v29, v58
	v_dot2_f32_f16 v59, v22, v30, v59
	v_dot2_f32_f16 v60, v22, v31, v60
	v_dot2_f32_f16 v61, v22, v32, v61
	v_dot2_f32_f16 v62, v23, v29, v62
	v_dot2_f32_f16 v63, v23, v30, v63
	v_dot2_f32_f16 v64, v23, v31, v64
	v_dot2_f32_f16 v65, v23, v32, v65
	v_dot2_f32_f16 v66, v24, v29, v66
	v_dot2_f32_f16 v67, v24, v30, v67
	v_dot2_f32_f16 v68, v24, v31, v68
	v_dot2_f32_f16 v69, v24, v32, v69
	ds_read_b128 v[21:24], v2 offset:5632
	s_waitcnt lgkmcnt(1)
	v_dot2_f32_f16 v70, v33, v25, v70
	v_dot2_f32_f16 v71, v33, v26, v71
	;; [unrolled: 1-line block ×16, first 2 shown]
	ds_read_b128 v[25:28], v3 offset:22016
	v_dot2_f32_f16 v86, v33, v29, v86
	v_dot2_f32_f16 v87, v33, v30, v87
	;; [unrolled: 1-line block ×16, first 2 shown]
	ds_read_b128 v[29:32], v3 offset:22272
	ds_read_b128 v[33:36], v2 offset:5888
	s_waitcnt lgkmcnt(2)
	v_dot2_f32_f16 v38, v21, v25, v38
	v_dot2_f32_f16 v39, v21, v26, v39
	;; [unrolled: 1-line block ×16, first 2 shown]
	s_waitcnt lgkmcnt(1)
	v_dot2_f32_f16 v54, v21, v29, v54
	v_dot2_f32_f16 v55, v21, v30, v55
	;; [unrolled: 1-line block ×16, first 2 shown]
	ds_read_b128 v[21:24], v2 offset:6144
	s_waitcnt lgkmcnt(1)
	v_dot2_f32_f16 v70, v33, v25, v70
	v_dot2_f32_f16 v71, v33, v26, v71
	v_dot2_f32_f16 v72, v33, v27, v72
	v_dot2_f32_f16 v73, v33, v28, v73
	v_dot2_f32_f16 v74, v34, v25, v74
	v_dot2_f32_f16 v75, v34, v26, v75
	v_dot2_f32_f16 v76, v34, v27, v76
	v_dot2_f32_f16 v77, v34, v28, v77
	v_dot2_f32_f16 v78, v35, v25, v78
	v_dot2_f32_f16 v79, v35, v26, v79
	v_dot2_f32_f16 v80, v35, v27, v80
	v_dot2_f32_f16 v81, v35, v28, v81
	v_dot2_f32_f16 v82, v36, v25, v82
	v_dot2_f32_f16 v83, v36, v26, v83
	v_dot2_f32_f16 v84, v36, v27, v84
	v_dot2_f32_f16 v85, v36, v28, v85
	ds_read_b128 v[25:28], v3 offset:22528
	v_dot2_f32_f16 v86, v33, v29, v86
	v_dot2_f32_f16 v87, v33, v30, v87
	;; [unrolled: 1-line block ×16, first 2 shown]
	ds_read_b128 v[29:32], v3 offset:22784
	ds_read_b128 v[33:36], v2 offset:6400
	s_waitcnt lgkmcnt(2)
	v_dot2_f32_f16 v38, v21, v25, v38
	v_dot2_f32_f16 v39, v21, v26, v39
	;; [unrolled: 1-line block ×16, first 2 shown]
	s_waitcnt lgkmcnt(1)
	v_dot2_f32_f16 v54, v21, v29, v54
	v_dot2_f32_f16 v55, v21, v30, v55
	;; [unrolled: 1-line block ×16, first 2 shown]
	ds_read_b128 v[21:24], v2 offset:6656
	s_waitcnt lgkmcnt(1)
	v_dot2_f32_f16 v70, v33, v25, v70
	v_dot2_f32_f16 v71, v33, v26, v71
	;; [unrolled: 1-line block ×16, first 2 shown]
	ds_read_b128 v[25:28], v3 offset:23040
	v_dot2_f32_f16 v86, v33, v29, v86
	v_dot2_f32_f16 v87, v33, v30, v87
	;; [unrolled: 1-line block ×16, first 2 shown]
	ds_read_b128 v[29:32], v3 offset:23296
	ds_read_b128 v[33:36], v2 offset:6912
	s_waitcnt lgkmcnt(2)
	v_dot2_f32_f16 v38, v21, v25, v38
	v_dot2_f32_f16 v39, v21, v26, v39
	;; [unrolled: 1-line block ×16, first 2 shown]
	s_waitcnt lgkmcnt(1)
	v_dot2_f32_f16 v54, v21, v29, v54
	v_dot2_f32_f16 v55, v21, v30, v55
	;; [unrolled: 1-line block ×16, first 2 shown]
	ds_read_b128 v[21:24], v2 offset:7168
	s_waitcnt lgkmcnt(1)
	v_dot2_f32_f16 v70, v33, v25, v70
	v_dot2_f32_f16 v71, v33, v26, v71
	;; [unrolled: 1-line block ×16, first 2 shown]
	ds_read_b128 v[25:28], v3 offset:23552
	v_dot2_f32_f16 v86, v33, v29, v86
	v_dot2_f32_f16 v87, v33, v30, v87
	;; [unrolled: 1-line block ×16, first 2 shown]
	ds_read_b128 v[29:32], v3 offset:23808
	ds_read_b128 v[33:36], v2 offset:7424
	s_waitcnt lgkmcnt(2)
	v_dot2_f32_f16 v38, v21, v25, v38
	v_dot2_f32_f16 v39, v21, v26, v39
	;; [unrolled: 1-line block ×16, first 2 shown]
	s_waitcnt lgkmcnt(1)
	v_dot2_f32_f16 v54, v21, v29, v54
	v_dot2_f32_f16 v55, v21, v30, v55
	;; [unrolled: 1-line block ×16, first 2 shown]
	ds_read_b128 v[21:24], v2 offset:7680
	s_waitcnt lgkmcnt(1)
	v_dot2_f32_f16 v70, v33, v25, v70
	v_dot2_f32_f16 v71, v33, v26, v71
	;; [unrolled: 1-line block ×16, first 2 shown]
	ds_read_b128 v[25:28], v3 offset:24064
	v_dot2_f32_f16 v86, v33, v29, v86
	v_dot2_f32_f16 v87, v33, v30, v87
	;; [unrolled: 1-line block ×16, first 2 shown]
	ds_read_b128 v[29:32], v3 offset:24320
	ds_read_b128 v[33:36], v2 offset:7936
	ds_write2st64_b32 v4, v8, v7 offset0:32 offset1:34
	ds_write2st64_b32 v4, v6, v5 offset0:36 offset1:38
	;; [unrolled: 1-line block ×8, first 2 shown]
	s_waitcnt lgkmcnt(0)
	s_barrier
	ds_read_b128 v[4:7], v2 offset:8192
	ds_read_b128 v[8:11], v3 offset:24576
	ds_read_b128 v[12:15], v3 offset:24832
	ds_read_b128 v[16:19], v2 offset:8448
	v_dot2_f32_f16 v38, v21, v25, v38
	v_dot2_f32_f16 v39, v21, v26, v39
	;; [unrolled: 1-line block ×64, first 2 shown]
	s_waitcnt lgkmcnt(2)
	v_dot2_f32_f16 v32, v4, v8, v38
	v_dot2_f32_f16 v36, v4, v9, v39
	;; [unrolled: 1-line block ×16, first 2 shown]
	s_waitcnt lgkmcnt(1)
	v_dot2_f32_f16 v51, v4, v12, v54
	v_dot2_f32_f16 v52, v4, v13, v55
	;; [unrolled: 1-line block ×16, first 2 shown]
	ds_read_b128 v[4:7], v2 offset:8704
	s_waitcnt lgkmcnt(1)
	v_dot2_f32_f16 v63, v16, v8, v66
	v_dot2_f32_f16 v64, v16, v9, v67
	v_dot2_f32_f16 v65, v16, v10, v68
	v_dot2_f32_f16 v66, v16, v11, v69
	v_dot2_f32_f16 v67, v17, v8, v70
	v_dot2_f32_f16 v68, v17, v9, v71
	v_dot2_f32_f16 v69, v17, v10, v72
	v_dot2_f32_f16 v70, v17, v11, v73
	v_dot2_f32_f16 v71, v18, v8, v74
	v_dot2_f32_f16 v72, v18, v9, v75
	v_dot2_f32_f16 v73, v18, v10, v76
	v_dot2_f32_f16 v74, v18, v11, v77
	v_dot2_f32_f16 v25, v19, v8, v25
	v_dot2_f32_f16 v26, v19, v9, v26
	v_dot2_f32_f16 v27, v19, v10, v27
	v_dot2_f32_f16 v28, v19, v11, v28
	ds_read_b128 v[8:11], v3 offset:25088
	v_dot2_f32_f16 v75, v16, v12, v78
	v_dot2_f32_f16 v76, v16, v13, v79
	;; [unrolled: 1-line block ×16, first 2 shown]
	ds_read_b128 v[12:15], v3 offset:25344
	ds_read_b128 v[16:19], v2 offset:8960
	s_waitcnt lgkmcnt(2)
	v_dot2_f32_f16 v32, v4, v8, v32
	v_dot2_f32_f16 v36, v4, v9, v36
	;; [unrolled: 1-line block ×16, first 2 shown]
	s_waitcnt lgkmcnt(1)
	v_dot2_f32_f16 v51, v4, v12, v51
	v_dot2_f32_f16 v52, v4, v13, v52
	v_dot2_f32_f16 v53, v4, v14, v53
	v_dot2_f32_f16 v21, v4, v15, v21
	v_dot2_f32_f16 v54, v5, v12, v54
	v_dot2_f32_f16 v55, v5, v13, v55
	v_dot2_f32_f16 v56, v5, v14, v56
	v_dot2_f32_f16 v22, v5, v15, v22
	v_dot2_f32_f16 v57, v6, v12, v57
	v_dot2_f32_f16 v58, v6, v13, v58
	v_dot2_f32_f16 v59, v6, v14, v59
	v_dot2_f32_f16 v23, v6, v15, v23
	v_dot2_f32_f16 v60, v7, v12, v60
	v_dot2_f32_f16 v61, v7, v13, v61
	v_dot2_f32_f16 v62, v7, v14, v62
	v_dot2_f32_f16 v24, v7, v15, v24
	ds_read_b128 v[4:7], v2 offset:9216
	s_waitcnt lgkmcnt(1)
	v_dot2_f32_f16 v63, v16, v8, v63
	v_dot2_f32_f16 v64, v16, v9, v64
	;; [unrolled: 1-line block ×16, first 2 shown]
	ds_read_b128 v[8:11], v3 offset:25600
	v_dot2_f32_f16 v75, v16, v12, v75
	v_dot2_f32_f16 v76, v16, v13, v76
	;; [unrolled: 1-line block ×16, first 2 shown]
	ds_read_b128 v[12:15], v3 offset:25856
	ds_read_b128 v[16:19], v2 offset:9472
	s_waitcnt lgkmcnt(2)
	v_dot2_f32_f16 v32, v4, v8, v32
	v_dot2_f32_f16 v36, v4, v9, v36
	v_dot2_f32_f16 v37, v4, v10, v37
	v_dot2_f32_f16 v38, v4, v11, v38
	v_dot2_f32_f16 v39, v5, v8, v39
	v_dot2_f32_f16 v40, v5, v9, v40
	v_dot2_f32_f16 v41, v5, v10, v41
	v_dot2_f32_f16 v42, v5, v11, v42
	v_dot2_f32_f16 v43, v6, v8, v43
	v_dot2_f32_f16 v44, v6, v9, v44
	v_dot2_f32_f16 v45, v6, v10, v45
	v_dot2_f32_f16 v46, v6, v11, v46
	v_dot2_f32_f16 v47, v7, v8, v47
	v_dot2_f32_f16 v48, v7, v9, v48
	v_dot2_f32_f16 v49, v7, v10, v49
	v_dot2_f32_f16 v50, v7, v11, v50
	s_waitcnt lgkmcnt(1)
	v_dot2_f32_f16 v51, v4, v12, v51
	v_dot2_f32_f16 v52, v4, v13, v52
	;; [unrolled: 1-line block ×16, first 2 shown]
	ds_read_b128 v[4:7], v2 offset:9728
	s_waitcnt lgkmcnt(1)
	v_dot2_f32_f16 v63, v16, v8, v63
	v_dot2_f32_f16 v64, v16, v9, v64
	;; [unrolled: 1-line block ×16, first 2 shown]
	ds_read_b128 v[8:11], v3 offset:26112
	v_dot2_f32_f16 v75, v16, v12, v75
	v_dot2_f32_f16 v76, v16, v13, v76
	;; [unrolled: 1-line block ×16, first 2 shown]
	ds_read_b128 v[12:15], v3 offset:26368
	ds_read_b128 v[16:19], v2 offset:9984
	s_waitcnt lgkmcnt(2)
	v_dot2_f32_f16 v32, v4, v8, v32
	v_dot2_f32_f16 v36, v4, v9, v36
	;; [unrolled: 1-line block ×16, first 2 shown]
	s_waitcnt lgkmcnt(1)
	v_dot2_f32_f16 v51, v4, v12, v51
	v_dot2_f32_f16 v52, v4, v13, v52
	;; [unrolled: 1-line block ×16, first 2 shown]
	ds_read_b128 v[4:7], v2 offset:10240
	s_waitcnt lgkmcnt(1)
	v_dot2_f32_f16 v63, v16, v8, v63
	v_dot2_f32_f16 v64, v16, v9, v64
	;; [unrolled: 1-line block ×16, first 2 shown]
	ds_read_b128 v[8:11], v3 offset:26624
	v_dot2_f32_f16 v75, v16, v12, v75
	v_dot2_f32_f16 v76, v16, v13, v76
	;; [unrolled: 1-line block ×16, first 2 shown]
	ds_read_b128 v[12:15], v3 offset:26880
	ds_read_b128 v[16:19], v2 offset:10496
	s_waitcnt lgkmcnt(2)
	v_dot2_f32_f16 v32, v4, v8, v32
	v_dot2_f32_f16 v36, v4, v9, v36
	;; [unrolled: 1-line block ×16, first 2 shown]
	s_waitcnt lgkmcnt(1)
	v_dot2_f32_f16 v51, v4, v12, v51
	v_dot2_f32_f16 v52, v4, v13, v52
	;; [unrolled: 1-line block ×16, first 2 shown]
	ds_read_b128 v[4:7], v2 offset:10752
	s_waitcnt lgkmcnt(1)
	v_dot2_f32_f16 v63, v16, v8, v63
	v_dot2_f32_f16 v64, v16, v9, v64
	;; [unrolled: 1-line block ×16, first 2 shown]
	ds_read_b128 v[8:11], v3 offset:27136
	v_dot2_f32_f16 v75, v16, v12, v75
	v_dot2_f32_f16 v76, v16, v13, v76
	;; [unrolled: 1-line block ×16, first 2 shown]
	ds_read_b128 v[12:15], v3 offset:27392
	ds_read_b128 v[16:19], v2 offset:11008
	s_waitcnt lgkmcnt(2)
	v_dot2_f32_f16 v32, v4, v8, v32
	v_dot2_f32_f16 v36, v4, v9, v36
	;; [unrolled: 1-line block ×16, first 2 shown]
	s_waitcnt lgkmcnt(1)
	v_dot2_f32_f16 v51, v4, v12, v51
	v_dot2_f32_f16 v52, v4, v13, v52
	;; [unrolled: 1-line block ×16, first 2 shown]
	ds_read_b128 v[4:7], v2 offset:11264
	s_waitcnt lgkmcnt(1)
	v_dot2_f32_f16 v63, v16, v8, v63
	v_dot2_f32_f16 v64, v16, v9, v64
	;; [unrolled: 1-line block ×16, first 2 shown]
	ds_read_b128 v[8:11], v3 offset:27648
	v_dot2_f32_f16 v75, v16, v12, v75
	v_dot2_f32_f16 v76, v16, v13, v76
	;; [unrolled: 1-line block ×16, first 2 shown]
	ds_read_b128 v[12:15], v3 offset:27904
	ds_read_b128 v[16:19], v2 offset:11520
	s_waitcnt lgkmcnt(2)
	v_dot2_f32_f16 v32, v4, v8, v32
	v_dot2_f32_f16 v36, v4, v9, v36
	;; [unrolled: 1-line block ×16, first 2 shown]
	s_waitcnt lgkmcnt(1)
	v_dot2_f32_f16 v51, v4, v12, v51
	v_dot2_f32_f16 v52, v4, v13, v52
	;; [unrolled: 1-line block ×16, first 2 shown]
	ds_read_b128 v[4:7], v2 offset:11776
	s_waitcnt lgkmcnt(1)
	v_dot2_f32_f16 v63, v16, v8, v63
	v_dot2_f32_f16 v64, v16, v9, v64
	;; [unrolled: 1-line block ×16, first 2 shown]
	ds_read_b128 v[8:11], v3 offset:28160
	v_dot2_f32_f16 v75, v16, v12, v75
	v_dot2_f32_f16 v76, v16, v13, v76
	;; [unrolled: 1-line block ×16, first 2 shown]
	ds_read_b128 v[12:15], v3 offset:28416
	ds_read_b128 v[16:19], v2 offset:12032
	s_waitcnt lgkmcnt(2)
	v_dot2_f32_f16 v32, v4, v8, v32
	v_dot2_f32_f16 v36, v4, v9, v36
	;; [unrolled: 1-line block ×16, first 2 shown]
	s_waitcnt lgkmcnt(1)
	v_dot2_f32_f16 v51, v4, v12, v51
	v_dot2_f32_f16 v52, v4, v13, v52
	v_dot2_f32_f16 v53, v4, v14, v53
	v_dot2_f32_f16 v21, v4, v15, v21
	v_dot2_f32_f16 v54, v5, v12, v54
	v_dot2_f32_f16 v55, v5, v13, v55
	v_dot2_f32_f16 v56, v5, v14, v56
	v_dot2_f32_f16 v22, v5, v15, v22
	v_dot2_f32_f16 v57, v6, v12, v57
	v_dot2_f32_f16 v58, v6, v13, v58
	v_dot2_f32_f16 v59, v6, v14, v59
	v_dot2_f32_f16 v23, v6, v15, v23
	v_dot2_f32_f16 v60, v7, v12, v60
	v_dot2_f32_f16 v61, v7, v13, v61
	v_dot2_f32_f16 v62, v7, v14, v62
	v_dot2_f32_f16 v24, v7, v15, v24
	ds_read_b128 v[4:7], v2 offset:12288
	s_waitcnt lgkmcnt(1)
	v_dot2_f32_f16 v63, v16, v8, v63
	v_dot2_f32_f16 v64, v16, v9, v64
	;; [unrolled: 1-line block ×16, first 2 shown]
	ds_read_b128 v[8:11], v3 offset:28672
	v_dot2_f32_f16 v75, v16, v12, v75
	v_dot2_f32_f16 v76, v16, v13, v76
	;; [unrolled: 1-line block ×16, first 2 shown]
	ds_read_b128 v[12:15], v3 offset:28928
	ds_read_b128 v[16:19], v2 offset:12544
	s_waitcnt lgkmcnt(2)
	v_dot2_f32_f16 v32, v4, v8, v32
	v_dot2_f32_f16 v36, v4, v9, v36
	;; [unrolled: 1-line block ×16, first 2 shown]
	s_waitcnt lgkmcnt(1)
	v_dot2_f32_f16 v51, v4, v12, v51
	v_dot2_f32_f16 v52, v4, v13, v52
	;; [unrolled: 1-line block ×16, first 2 shown]
	ds_read_b128 v[4:7], v2 offset:12800
	s_waitcnt lgkmcnt(1)
	v_dot2_f32_f16 v63, v16, v8, v63
	v_dot2_f32_f16 v64, v16, v9, v64
	;; [unrolled: 1-line block ×16, first 2 shown]
	ds_read_b128 v[8:11], v3 offset:29184
	v_dot2_f32_f16 v75, v16, v12, v75
	v_dot2_f32_f16 v76, v16, v13, v76
	;; [unrolled: 1-line block ×16, first 2 shown]
	ds_read_b128 v[12:15], v3 offset:29440
	ds_read_b128 v[16:19], v2 offset:13056
	s_waitcnt lgkmcnt(2)
	v_dot2_f32_f16 v32, v4, v8, v32
	v_dot2_f32_f16 v36, v4, v9, v36
	;; [unrolled: 1-line block ×16, first 2 shown]
	s_waitcnt lgkmcnt(1)
	v_dot2_f32_f16 v51, v4, v12, v51
	v_dot2_f32_f16 v52, v4, v13, v52
	;; [unrolled: 1-line block ×16, first 2 shown]
	ds_read_b128 v[4:7], v2 offset:13312
	s_waitcnt lgkmcnt(1)
	v_dot2_f32_f16 v63, v16, v8, v63
	v_dot2_f32_f16 v64, v16, v9, v64
	;; [unrolled: 1-line block ×16, first 2 shown]
	ds_read_b128 v[8:11], v3 offset:29696
	v_dot2_f32_f16 v75, v16, v12, v75
	v_dot2_f32_f16 v76, v16, v13, v76
	;; [unrolled: 1-line block ×16, first 2 shown]
	ds_read_b128 v[12:15], v3 offset:29952
	ds_read_b128 v[16:19], v2 offset:13568
	s_waitcnt lgkmcnt(2)
	v_dot2_f32_f16 v32, v4, v8, v32
	v_dot2_f32_f16 v36, v4, v9, v36
	;; [unrolled: 1-line block ×16, first 2 shown]
	s_waitcnt lgkmcnt(1)
	v_dot2_f32_f16 v51, v4, v12, v51
	v_dot2_f32_f16 v52, v4, v13, v52
	;; [unrolled: 1-line block ×16, first 2 shown]
	ds_read_b128 v[4:7], v2 offset:13824
	s_waitcnt lgkmcnt(1)
	v_dot2_f32_f16 v63, v16, v8, v63
	v_dot2_f32_f16 v64, v16, v9, v64
	;; [unrolled: 1-line block ×16, first 2 shown]
	ds_read_b128 v[8:11], v3 offset:30208
	v_dot2_f32_f16 v75, v16, v12, v75
	v_dot2_f32_f16 v76, v16, v13, v76
	;; [unrolled: 1-line block ×16, first 2 shown]
	ds_read_b128 v[12:15], v3 offset:30464
	ds_read_b128 v[16:19], v2 offset:14080
	s_waitcnt lgkmcnt(2)
	v_dot2_f32_f16 v32, v4, v8, v32
	v_dot2_f32_f16 v36, v4, v9, v36
	;; [unrolled: 1-line block ×16, first 2 shown]
	s_waitcnt lgkmcnt(1)
	v_dot2_f32_f16 v51, v4, v12, v51
	v_dot2_f32_f16 v52, v4, v13, v52
	;; [unrolled: 1-line block ×16, first 2 shown]
	ds_read_b128 v[4:7], v2 offset:14336
	s_waitcnt lgkmcnt(1)
	v_dot2_f32_f16 v63, v16, v8, v63
	v_dot2_f32_f16 v64, v16, v9, v64
	;; [unrolled: 1-line block ×16, first 2 shown]
	ds_read_b128 v[8:11], v3 offset:30720
	v_dot2_f32_f16 v75, v16, v12, v75
	v_dot2_f32_f16 v76, v16, v13, v76
	;; [unrolled: 1-line block ×16, first 2 shown]
	ds_read_b128 v[12:15], v3 offset:30976
	ds_read_b128 v[16:19], v2 offset:14592
	s_waitcnt lgkmcnt(2)
	v_dot2_f32_f16 v32, v4, v8, v32
	v_dot2_f32_f16 v36, v4, v9, v36
	;; [unrolled: 1-line block ×16, first 2 shown]
	s_waitcnt lgkmcnt(1)
	v_dot2_f32_f16 v51, v4, v12, v51
	v_dot2_f32_f16 v52, v4, v13, v52
	;; [unrolled: 1-line block ×16, first 2 shown]
	ds_read_b128 v[4:7], v2 offset:14848
	s_waitcnt lgkmcnt(1)
	v_dot2_f32_f16 v63, v16, v8, v63
	v_dot2_f32_f16 v64, v16, v9, v64
	;; [unrolled: 1-line block ×16, first 2 shown]
	ds_read_b128 v[8:11], v3 offset:31232
	v_dot2_f32_f16 v75, v16, v12, v75
	v_dot2_f32_f16 v76, v16, v13, v76
	;; [unrolled: 1-line block ×16, first 2 shown]
	ds_read_b128 v[12:15], v3 offset:31488
	ds_read_b128 v[16:19], v2 offset:15104
	s_waitcnt lgkmcnt(2)
	v_dot2_f32_f16 v32, v4, v8, v32
	v_dot2_f32_f16 v36, v4, v9, v36
	;; [unrolled: 1-line block ×16, first 2 shown]
	s_waitcnt lgkmcnt(1)
	v_dot2_f32_f16 v51, v4, v12, v51
	v_dot2_f32_f16 v52, v4, v13, v52
	;; [unrolled: 1-line block ×16, first 2 shown]
	ds_read_b128 v[4:7], v2 offset:15360
	s_waitcnt lgkmcnt(1)
	v_dot2_f32_f16 v63, v16, v8, v63
	v_dot2_f32_f16 v64, v16, v9, v64
	;; [unrolled: 1-line block ×16, first 2 shown]
	ds_read_b128 v[8:11], v3 offset:31744
	v_dot2_f32_f16 v75, v16, v12, v75
	v_dot2_f32_f16 v76, v16, v13, v76
	;; [unrolled: 1-line block ×16, first 2 shown]
	ds_read_b128 v[12:15], v3 offset:32000
	ds_read_b128 v[16:19], v2 offset:15616
	s_waitcnt lgkmcnt(2)
	v_dot2_f32_f16 v32, v4, v8, v32
	v_dot2_f32_f16 v36, v4, v9, v36
	;; [unrolled: 1-line block ×4, first 2 shown]
	s_waitcnt lgkmcnt(0)
	v_dot2_f32_f16 v118, v19, v15, v31
	v_or_b32_e32 v31, s11, v1
	v_mul_lo_u32 v1, v31, s34
	v_dot2_f32_f16 v111, v17, v15, v34
	v_add_u32_e32 v34, s18, v0
	s_lshl_b32 s18, s33, 1
	v_mad_u64_u32 v[0:1], s[0:1], v34, s35, v[1:2]
	v_dot2_f32_f16 v39, v5, v8, v39
	v_dot2_f32_f16 v84, v5, v9, v40
	v_lshlrev_b32_e32 v1, 1, v0
	v_dot2_f32_f16 v85, v5, v10, v41
	v_dot2_f32_f16 v42, v5, v11, v42
	;; [unrolled: 1-line block ×26, first 2 shown]
	ds_read_b128 v[4:7], v2 offset:15872
	ds_read_b128 v[44:47], v3 offset:32256
	v_dot2_f32_f16 v100, v16, v8, v63
	v_dot2_f32_f16 v101, v16, v9, v64
	;; [unrolled: 1-line block ×3, first 2 shown]
	ds_read_b128 v[52:55], v3 offset:32512
	ds_read_b128 v[61:64], v2 offset:16128
	buffer_load_dwordx2 v[20:21], v1, s[16:19], 0 offen
	v_add_u32_e32 v2, s34, v0
	v_dot2_f32_f16 v109, v16, v15, v33
	s_waitcnt lgkmcnt(1)
	v_dot2_f32_f16 v33, v5, v55, v22
	v_dot2_f32_f16 v22, v6, v54, v59
	v_add_u32_e32 v59, s34, v2
	v_dot2_f32_f16 v75, v16, v12, v75
	v_dot2_f32_f16 v110, v17, v12, v78
	;; [unrolled: 1-line block ×4, first 2 shown]
	v_add_lshl_u32 v12, v59, s6, 1
	v_dot2_f32_f16 v122, v5, v45, v84
	v_dot2_f32_f16 v24, v5, v46, v85
	buffer_load_dwordx2 v[84:85], v12, s[16:19], 0 offen
	v_add_lshl_u32 v1, v0, s6, 1
	buffer_load_dwordx2 v[48:49], v1, s[16:19], 0 offen
	v_lshlrev_b32_e32 v0, 1, v2
	v_dot2_f32_f16 v102, v17, v11, v70
	v_dot2_f32_f16 v103, v18, v8, v71
	buffer_load_dwordx2 v[70:71], v0, s[16:19], 0 offen
	v_add_lshl_u32 v0, v2, s6, 1
	v_dot2_f32_f16 v108, v16, v14, v77
	buffer_load_dwordx2 v[77:78], v0, s[16:19], 0 offen
	v_lshlrev_b32_e32 v2, 1, v59
	v_dot2_f32_f16 v112, v18, v13, v82
	v_dot2_f32_f16 v113, v18, v14, v83
	buffer_load_dwordx2 v[82:83], v2, s[16:19], 0 offen
	v_dot2_f32_f16 v68, v17, v9, v68
	v_dot2_f32_f16 v72, v18, v9, v72
	v_dot2_f32_f16 v105, v19, v9, v26
	v_dot2_f32_f16 v66, v16, v11, v66
	v_dot2_f32_f16 v74, v18, v11, v74
	v_dot2_f32_f16 v107, v19, v11, v28
	v_dot2_f32_f16 v114, v18, v15, v35
	v_dot2_f32_f16 v116, v19, v13, v30
	v_dot2_f32_f16 v120, v4, v45, v36
	v_dot2_f32_f16 v123, v6, v44, v43
	v_dot2_f32_f16 v36, v6, v45, v86
	v_dot2_f32_f16 v26, v7, v45, v90
	v_dot2_f32_f16 v90, v4, v52, v51
	v_dot2_f32_f16 v35, v7, v52, v60
	s_waitcnt lgkmcnt(0)
	v_dot2_f32_f16 v30, v61, v45, v101
	v_dot2_f32_f16 v43, v62, v45, v68
	;; [unrolled: 1-line block ×4, first 2 shown]
	v_add_u32_e32 v45, s34, v59
	v_dot2_f32_f16 v104, v19, v8, v25
	v_dot2_f32_f16 v106, v19, v10, v27
	;; [unrolled: 1-line block ×16, first 2 shown]
	v_lshlrev_b32_e32 v47, 1, v45
	v_dot2_f32_f16 v73, v18, v10, v73
	v_dot2_f32_f16 v18, v6, v46, v87
	buffer_load_dwordx2 v[86:87], v47, s[16:19], 0 offen
	v_dot2_f32_f16 v67, v17, v8, v67
	v_dot2_f32_f16 v76, v16, v13, v76
	v_dot2_f32_f16 v79, v17, v13, v79
	v_dot2_f32_f16 v65, v16, v10, v65
	v_dot2_f32_f16 v69, v17, v10, v69
	v_dot2_f32_f16 v40, v4, v46, v37
	v_dot2_f32_f16 v27, v7, v44, v89
	v_dot2_f32_f16 v10, v7, v46, v91
	v_dot2_f32_f16 v91, v4, v53, v92
	v_dot2_f32_f16 v124, v6, v53, v58
	v_dot2_f32_f16 v28, v7, v53, v97
	v_dot2_f32_f16 v29, v61, v44, v100
	v_dot2_f32_f16 v42, v62, v44, v67
	v_dot2_f32_f16 v50, v63, v44, v103
	v_dot2_f32_f16 v56, v64, v44, v104
	v_dot2_f32_f16 v37, v61, v53, v76
	v_dot2_f32_f16 v44, v62, v53, v79
	v_dot2_f32_f16 v66, v63, v53, v112
	v_dot2_f32_f16 v68, v64, v53, v116
	v_add_lshl_u32 v53, v45, s6, 1
	buffer_load_dwordx2 v[88:89], v53, s[16:19], 0 offen
	v_cmp_gt_i32_e32 vcc, s31, v34
	v_cmp_gt_i32_e64 s[2:3], s29, v31
	s_and_b64 s[0:1], s[2:3], vcc
	v_dot2_f32_f16 v8, v63, v46, v73
	s_waitcnt vmcnt(7)
	v_cndmask_b32_e64 v73, 0, v21, s[0:1]
	v_cndmask_b32_e64 v21, 0, v20, s[0:1]
	v_cvt_f32_f16_e32 v47, v21
	v_dot2_f32_f16 v80, v17, v14, v80
	v_dot2_f32_f16 v38, v4, v54, v93
	v_dot2_f32_f16 v57, v6, v52, v57
	v_dot2_f32_f16 v16, v7, v54, v98
	v_dot2_f32_f16 v0, v61, v46, v65
	v_dot2_f32_f16 v4, v62, v46, v69
	v_dot2_f32_f16 v14, v64, v46, v106
	v_dot2_f32_f16 v98, v61, v52, v75
	v_dot2_f32_f16 v46, v62, v52, v110
	v_dot2_f32_f16 v58, v63, v52, v81
	v_dot2_f32_f16 v69, v64, v52, v115
	v_cvt_f32_f16_sdwa v52, v21 dst_sel:DWORD dst_unused:UNUSED_PAD src0_sel:WORD_1
	v_add_f32_e32 v47, v119, v47
	v_max_f32_e32 v75, 0, v47
	v_dot2_f32_f16 v12, v63, v54, v113
	v_add_f32_e32 v47, v120, v52
	v_add_u32_e32 v52, 64, v34
	v_cmp_gt_i32_e64 s[0:1], s31, v52
	s_and_b64 s[2:3], s[2:3], s[0:1]
	v_dot2_f32_f16 v13, v63, v55, v114
	s_waitcnt vmcnt(5)
	v_cndmask_b32_e64 v63, 0, v49, s[2:3]
	v_cndmask_b32_e64 v49, 0, v48, s[2:3]
	v_cvt_f32_f16_e32 v53, v49
	v_dot2_f32_f16 v23, v6, v55, v23
	v_dot2_f32_f16 v6, v62, v54, v80
	v_max_f32_e32 v80, 0, v47
	v_mad_u64_u32 v[47:48], s[2:3], s34, 61, v[45:46]
	v_add_f32_e32 v45, v90, v53
	v_cvt_f32_f16_sdwa v53, v49 dst_sel:DWORD dst_unused:UNUSED_PAD src0_sel:WORD_1
	v_max_f32_e32 v74, 0, v45
	v_lshlrev_b32_e32 v45, 1, v47
	buffer_load_dwordx2 v[48:49], v45, s[16:19], 0 offen
	v_or_b32_e32 v59, 1, v31
	v_cmp_gt_i32_e64 s[2:3], s29, v59
	s_and_b64 s[4:5], s[2:3], vcc
	v_add_f32_e32 v45, v91, v53
	s_waitcnt vmcnt(5)
	v_cndmask_b32_e64 v53, 0, v70, s[4:5]
	v_dot2_f32_f16 v17, v7, v55, v99
	v_dot2_f32_f16 v3, v61, v55, v109
	;; [unrolled: 1-line block ×4, first 2 shown]
	v_cvt_f32_f16_e32 v55, v53
	v_max_f32_e32 v81, 0, v45
	s_and_b64 s[2:3], s[2:3], s[0:1]
	v_dot2_f32_f16 v2, v61, v54, v108
	v_add_f32_e32 v45, v121, v55
	v_add_lshl_u32 v61, v47, s6, 1
	v_max_f32_e32 v62, 0, v45
	v_cvt_f32_f16_sdwa v45, v53 dst_sel:DWORD dst_unused:UNUSED_PAD src0_sel:WORD_1
	s_waitcnt vmcnt(4)
	v_cndmask_b32_e64 v53, 0, v77, s[2:3]
	buffer_load_dwordx2 v[90:91], v61, s[16:19], 0 offen
	v_cvt_f32_f16_e32 v55, v53
	v_add_u32_e32 v47, s34, v47
	v_lshlrev_b32_e32 v61, 1, v47
	buffer_load_dwordx2 v[92:93], v61, s[16:19], 0 offen
	v_add_f32_e32 v45, v122, v45
	v_max_f32_e32 v72, 0, v45
	v_add_f32_e32 v45, v94, v55
	v_cvt_f32_f16_sdwa v53, v53 dst_sel:DWORD dst_unused:UNUSED_PAD src0_sel:WORD_1
	v_or_b32_e32 v55, 2, v31
	v_cndmask_b32_e64 v76, 0, v78, s[2:3]
	v_cmp_gt_i32_e64 s[2:3], s29, v55
	v_add_lshl_u32 v61, v47, s6, 1
	v_dot2_f32_f16 v20, v64, v54, v117
	v_cndmask_b32_e64 v54, 0, v71, s[4:5]
	buffer_load_dwordx2 v[94:95], v61, s[16:19], 0 offen
	s_and_b64 s[4:5], s[2:3], vcc
	s_waitcnt vmcnt(6)
	v_cndmask_b32_e64 v61, 0, v82, s[4:5]
	v_max_f32_e32 v99, 0, v45
	v_add_f32_e32 v45, v96, v53
	v_cvt_f32_f16_sdwa v53, v61 dst_sel:DWORD dst_unused:UNUSED_PAD src0_sel:WORD_1
	v_cvt_f32_f16_e32 v64, v61
	v_add_u32_e32 v47, s34, v47
	v_max_f32_e32 v100, 0, v45
	v_add_f32_e32 v36, v36, v53
	v_add_f32_e32 v45, v123, v64
	v_lshlrev_b32_e32 v61, 1, v47
	s_and_b64 s[2:3], s[2:3], s[0:1]
	v_max_f32_e32 v79, 0, v36
	v_add_lshl_u32 v36, v47, s6, 1
	v_cndmask_b32_e64 v67, 0, v83, s[4:5]
	buffer_load_dwordx2 v[96:97], v61, s[16:19], 0 offen
	v_max_f32_e32 v78, 0, v45
	v_cndmask_b32_e64 v45, 0, v84, s[2:3]
	buffer_load_dwordx2 v[83:84], v36, s[16:19], 0 offen
	v_cvt_f32_f16_e32 v53, v45
	v_cndmask_b32_e64 v65, 0, v85, s[2:3]
	v_add_u32_e32 v47, s34, v47
	v_lshlrev_b32_e32 v70, 1, v47
	v_add_f32_e32 v36, v57, v53
	v_or_b32_e32 v57, 3, v31
	v_cmp_gt_i32_e64 s[2:3], s29, v57
	s_and_b64 s[4:5], s[2:3], vcc
	s_waitcnt vmcnt(7)
	v_cndmask_b32_e64 v61, 0, v86, s[4:5]
	buffer_load_dwordx2 v[85:86], v70, s[16:19], 0 offen
	v_cvt_f32_f16_sdwa v45, v45 dst_sel:DWORD dst_unused:UNUSED_PAD src0_sel:WORD_1
	s_and_b64 s[2:3], s[2:3], s[0:1]
	v_add_lshl_u32 v47, v47, s6, 1
	v_cndmask_b32_e64 v53, 0, v87, s[4:5]
	v_max_f32_e32 v82, 0, v36
	v_add_f32_e32 v36, v124, v45
	s_waitcnt vmcnt(7)
	v_cndmask_b32_e64 v45, 0, v88, s[2:3]
	buffer_load_dwordx2 v[87:88], v47, s[16:19], 0 offen
	v_max_f32_e32 v101, 0, v36
	v_cvt_f32_f16_sdwa v36, v61 dst_sel:DWORD dst_unused:UNUSED_PAD src0_sel:WORD_1
	v_cvt_f32_f16_e32 v47, v45
	v_cndmask_b32_e64 v77, 0, v89, s[2:3]
	v_cvt_f32_f16_e32 v64, v61
	v_add_f32_e32 v26, v26, v36
	v_max_f32_e32 v71, 0, v26
	v_or_b32_e32 v26, 64, v31
	v_cmp_gt_i32_e64 s[2:3], s29, v26
	s_and_b64 s[4:5], s[2:3], vcc
	v_cvt_f32_f16_sdwa v36, v45 dst_sel:DWORD dst_unused:UNUSED_PAD src0_sel:WORD_1
	s_waitcnt vmcnt(7)
	v_cndmask_b32_e64 v45, 0, v48, s[4:5]
	v_add_f32_e32 v35, v35, v47
	v_cvt_f32_f16_e32 v47, v45
	v_add_f32_e32 v28, v28, v36
	v_max_f32_e32 v102, 0, v28
	s_and_b64 s[2:3], s[2:3], s[0:1]
	v_add_f32_e32 v28, v29, v47
	v_cvt_f32_f16_sdwa v29, v45 dst_sel:DWORD dst_unused:UNUSED_PAD src0_sel:WORD_1
	v_add_f32_e32 v27, v27, v64
	v_max_f32_e32 v89, 0, v35
	v_max_f32_e32 v70, 0, v27
	v_add_f32_e32 v29, v30, v29
	v_or_b32_e32 v30, 0x41, v31
	v_cndmask_b32_e64 v27, 0, v49, s[4:5]
	s_mov_b32 s11, s15
	v_max_f32_e32 v28, 0, v28
	s_waitcnt vmcnt(6)
	v_cndmask_b32_e64 v35, 0, v91, s[2:3]
	v_cndmask_b32_e64 v36, 0, v90, s[2:3]
	v_cmp_gt_i32_e64 s[2:3], s29, v30
	s_and_b64 s[4:5], s[2:3], vcc
	v_cvt_f32_f16_e32 v45, v36
	v_cvt_f32_f16_sdwa v48, v36 dst_sel:DWORD dst_unused:UNUSED_PAD src0_sel:WORD_1
	s_waitcnt vmcnt(5)
	v_cndmask_b32_e64 v49, 0, v92, s[4:5]
	v_cvt_f32_f16_e32 v61, v49
	s_and_b64 s[2:3], s[2:3], s[0:1]
	v_add_f32_e32 v47, v98, v45
	v_add_f32_e32 v37, v37, v48
	v_cvt_f32_f16_sdwa v48, v49 dst_sel:DWORD dst_unused:UNUSED_PAD src0_sel:WORD_1
	v_max_f32_e32 v36, 0, v47
	v_add_f32_e32 v47, v42, v61
	v_cndmask_b32_e64 v45, 0, v93, s[4:5]
	s_waitcnt vmcnt(4)
	v_cndmask_b32_e64 v49, 0, v94, s[2:3]
	v_cvt_f32_f16_e32 v61, v49
	v_add_f32_e32 v43, v43, v48
	v_max_f32_e32 v48, 0, v43
	v_cndmask_b32_e64 v42, 0, v95, s[2:3]
	v_add_f32_e32 v43, v46, v61
	v_cvt_f32_f16_sdwa v61, v49 dst_sel:DWORD dst_unused:UNUSED_PAD src0_sel:WORD_1
	v_or_b32_e32 v46, 0x42, v31
	v_cmp_gt_i32_e64 s[2:3], s29, v46
	s_and_b64 s[4:5], s[2:3], vcc
	s_and_b64 s[2:3], s[2:3], s[0:1]
	v_add_f32_e32 v44, v44, v61
	v_max_f32_e32 v47, 0, v47
	v_max_f32_e32 v43, 0, v43
	;; [unrolled: 1-line block ×4, first 2 shown]
	s_waitcnt vmcnt(3)
	v_cndmask_b32_e64 v64, 0, v96, s[4:5]
	v_cvt_f32_f16_e32 v90, v64
	v_cvt_f32_f16_sdwa v64, v64 dst_sel:DWORD dst_unused:UNUSED_PAD src0_sel:WORD_1
	s_waitcnt vmcnt(2)
	v_cndmask_b32_e64 v83, 0, v83, s[2:3]
	v_cndmask_b32_e64 v61, 0, v84, s[2:3]
	v_cvt_f32_f16_e32 v84, v83
	v_add_f32_e32 v51, v51, v64
	v_cvt_f32_f16_sdwa v83, v83 dst_sel:DWORD dst_unused:UNUSED_PAD src0_sel:WORD_1
	v_cndmask_b32_e64 v49, 0, v97, s[4:5]
	v_add_f32_e32 v64, v58, v84
	v_or_b32_e32 v58, 0x43, v31
	v_cmp_gt_i32_e64 s[2:3], s29, v58
	s_and_b64 vcc, s[2:3], vcc
	s_waitcnt vmcnt(1)
	v_cndmask_b32_e32 v85, 0, v85, vcc
	v_cndmask_b32_e32 v84, 0, v86, vcc
	v_cvt_f32_f16_e32 v86, v85
	v_cvt_f32_f16_sdwa v85, v85 dst_sel:DWORD dst_unused:UNUSED_PAD src0_sel:WORD_1
	s_and_b64 vcc, s[2:3], s[0:1]
	v_add_f32_e32 v66, v66, v83
	v_add_f32_e32 v56, v56, v86
	;; [unrolled: 1-line block ×3, first 2 shown]
	s_waitcnt vmcnt(0)
	v_cndmask_b32_e32 v86, 0, v87, vcc
	v_cvt_f32_f16_e32 v87, v86
	v_cvt_f32_f16_sdwa v85, v86 dst_sel:DWORD dst_unused:UNUSED_PAD src0_sel:WORD_1
	v_max_f32_e32 v86, 0, v60
	v_max_f32_e32 v83, 0, v56
	v_add_f32_e32 v60, v69, v87
	v_max_f32_e32 v87, 0, v60
	v_add_f32_e32 v60, v68, v85
	v_cvt_f32_f16_sdwa v68, v73 dst_sel:DWORD dst_unused:UNUSED_PAD src0_sel:WORD_1
	v_cvt_f32_f16_e32 v69, v73
	v_max_f32_e32 v85, 0, v60
	v_mul_lo_u32 v60, v31, s12
	v_add_f32_e32 v41, v41, v68
	v_add_f32_e32 v40, v40, v69
	v_max_f32_e32 v40, 0, v40
	v_max_f32_e32 v41, 0, v41
	v_cvt_f16_f32_e32 v73, v75
	v_cvt_f16_f32_e32 v75, v80
	;; [unrolled: 1-line block ×4, first 2 shown]
	v_mad_u64_u32 v[40:41], s[0:1], v34, s13, v[60:61]
	v_cndmask_b32_e32 v56, 0, v88, vcc
	v_cmp_gt_i32_e32 vcc, s20, v34
	v_cmp_gt_i32_e64 s[2:3], s14, v31
	v_bfrev_b32_e32 v31, 1
	s_and_b64 s[0:1], s[2:3], vcc
	v_cndmask_b32_e64 v34, v31, 0, s[0:1]
	v_pack_b32_f16 v68, v73, v75
	v_pack_b32_f16 v69, v80, v69
	v_lshl_add_u32 v34, v40, 1, v34
	buffer_store_dwordx2 v[68:69], v34, s[8:11], 0 offen
	v_cvt_f32_f16_sdwa v34, v63 dst_sel:DWORD dst_unused:UNUSED_PAD src0_sel:WORD_1
	v_cvt_f32_f16_e32 v41, v63
	v_cvt_f16_f32_e32 v60, v74
	v_cvt_f16_f32_e32 v63, v81
	v_add_f32_e32 v34, v39, v34
	v_add_f32_e32 v38, v38, v41
	v_max_f32_e32 v38, 0, v38
	v_max_f32_e32 v34, 0, v34
	v_cvt_f16_f32_e32 v34, v34
	v_cvt_f16_f32_e32 v39, v38
	v_pack_b32_f16 v38, v60, v63
	v_cmp_gt_i32_e64 s[0:1], s20, v52
	v_cvt_f32_f16_sdwa v52, v76 dst_sel:DWORD dst_unused:UNUSED_PAD src0_sel:WORD_1
	v_cvt_f32_f16_e32 v60, v76
	s_lshl_b32 s4, s13, 6
	s_and_b64 s[2:3], s[2:3], s[0:1]
	v_add_u32_e32 v41, s4, v40
	v_pack_b32_f16 v39, v39, v34
	v_cndmask_b32_e64 v34, v31, 0, s[2:3]
	v_lshl_add_u32 v34, v41, 1, v34
	v_add_f32_e32 v33, v33, v52
	v_add_f32_e32 v32, v32, v60
	buffer_store_dwordx2 v[38:39], v34, s[8:11], 0 offen
	v_add_u32_e32 v34, s12, v41
	v_cvt_f32_f16_sdwa v39, v54 dst_sel:DWORD dst_unused:UNUSED_PAD src0_sel:WORD_1
	v_cvt_f32_f16_e32 v41, v54
	v_max_f32_e32 v32, 0, v32
	v_max_f32_e32 v33, 0, v33
	v_cvt_f16_f32_e32 v33, v33
	v_cvt_f16_f32_e32 v52, v32
	;; [unrolled: 1-line block ×4, first 2 shown]
	v_add_f32_e32 v25, v25, v39
	v_add_f32_e32 v24, v24, v41
	v_cmp_gt_i32_e64 s[2:3], s14, v59
	v_max_f32_e32 v24, 0, v24
	v_max_f32_e32 v25, 0, v25
	v_pack_b32_f16 v33, v52, v33
	s_and_b64 s[6:7], s[2:3], s[0:1]
	v_cvt_f16_f32_e32 v52, v62
	v_cvt_f16_f32_e32 v54, v72
	v_cvt_f16_f32_e32 v25, v25
	v_cvt_f16_f32_e32 v39, v24
	v_cndmask_b32_e64 v38, v31, 0, s[6:7]
	v_pack_b32_f16 v32, v63, v68
	v_lshl_add_u32 v38, v34, 1, v38
	s_and_b64 s[2:3], s[2:3], vcc
	buffer_store_dwordx2 v[32:33], v38, s[8:11], 0 offen
	v_add_u32_e32 v32, s12, v40
	v_cndmask_b32_e64 v33, v31, 0, s[2:3]
	v_cmp_gt_i32_e64 s[2:3], s14, v55
	v_pack_b32_f16 v24, v52, v54
	v_pack_b32_f16 v25, v39, v25
	v_lshl_add_u32 v33, v32, 1, v33
	s_and_b64 s[6:7], s[2:3], vcc
	v_cvt_f32_f16_sdwa v38, v67 dst_sel:DWORD dst_unused:UNUSED_PAD src0_sel:WORD_1
	v_cvt_f32_f16_e32 v39, v67
	buffer_store_dwordx2 v[24:25], v33, s[8:11], 0 offen
	v_add_u32_e32 v24, s12, v32
	v_cndmask_b32_e64 v25, v31, 0, s[6:7]
	v_lshl_add_u32 v24, v24, 1, v25
	v_cvt_f32_f16_sdwa v25, v65 dst_sel:DWORD dst_unused:UNUSED_PAD src0_sel:WORD_1
	v_cvt_f32_f16_e32 v32, v65
	v_add_f32_e32 v19, v19, v38
	v_add_f32_e32 v18, v18, v39
	v_max_f32_e32 v18, 0, v18
	v_max_f32_e32 v19, 0, v19
	v_add_f32_e32 v23, v23, v25
	v_add_f32_e32 v22, v22, v32
	v_cvt_f16_f32_e32 v40, v78
	v_cvt_f16_f32_e32 v41, v79
	;; [unrolled: 1-line block ×4, first 2 shown]
	v_max_f32_e32 v22, 0, v22
	v_max_f32_e32 v23, 0, v23
	v_cvt_f16_f32_e32 v23, v23
	v_cvt_f16_f32_e32 v22, v22
	v_pack_b32_f16 v18, v40, v41
	v_pack_b32_f16 v19, v38, v19
	buffer_store_dwordx2 v[18:19], v24, s[8:11], 0 offen
	v_pack_b32_f16 v19, v22, v23
	v_cvt_f32_f16_sdwa v23, v77 dst_sel:DWORD dst_unused:UNUSED_PAD src0_sel:WORD_1
	v_cvt_f32_f16_e32 v25, v77
	v_cvt_f16_f32_e32 v33, v82
	v_cvt_f16_f32_e32 v38, v101
	v_add_f32_e32 v17, v17, v23
	v_add_f32_e32 v16, v16, v25
	v_max_f32_e32 v16, 0, v16
	v_max_f32_e32 v17, 0, v17
	v_cvt_f16_f32_e32 v17, v17
	v_cvt_f16_f32_e32 v23, v16
	s_and_b64 s[2:3], s[2:3], s[0:1]
	v_add_u32_e32 v24, s12, v34
	v_cndmask_b32_e64 v22, v31, 0, s[2:3]
	v_pack_b32_f16 v18, v33, v38
	v_lshl_add_u32 v22, v24, 1, v22
	buffer_store_dwordx2 v[18:19], v22, s[8:11], 0 offen
	v_pack_b32_f16 v17, v23, v17
	v_cvt_f32_f16_sdwa v22, v53 dst_sel:DWORD dst_unused:UNUSED_PAD src0_sel:WORD_1
	v_cvt_f32_f16_e32 v23, v53
	v_cvt_f16_f32_e32 v32, v89
	v_cvt_f16_f32_e32 v33, v102
	v_add_f32_e32 v11, v11, v22
	v_add_f32_e32 v10, v10, v23
	v_cmp_gt_i32_e64 s[2:3], s14, v57
	v_max_f32_e32 v10, 0, v10
	v_max_f32_e32 v11, 0, v11
	v_pack_b32_f16 v16, v32, v33
	s_and_b64 s[6:7], s[2:3], s[0:1]
	v_cvt_f16_f32_e32 v25, v70
	v_cvt_f16_f32_e32 v32, v71
	;; [unrolled: 1-line block ×4, first 2 shown]
	v_add_u32_e32 v18, s12, v24
	v_cndmask_b32_e64 v19, v31, 0, s[6:7]
	v_lshl_add_u32 v19, v18, 1, v19
	s_and_b64 s[2:3], s[2:3], vcc
	buffer_store_dwordx2 v[16:17], v19, s[8:11], 0 offen
	v_subrev_u32_e32 v16, s4, v18
	v_cndmask_b32_e64 v17, v31, 0, s[2:3]
	v_pack_b32_f16 v10, v25, v32
	v_pack_b32_f16 v11, v22, v11
	v_lshl_add_u32 v17, v16, 1, v17
	buffer_store_dwordx2 v[10:11], v17, s[8:11], 0 offen
	v_cvt_f32_f16_sdwa v10, v84 dst_sel:DWORD dst_unused:UNUSED_PAD src0_sel:WORD_1
	v_cvt_f32_f16_e32 v11, v84
	v_cmp_gt_i32_e64 s[2:3], s14, v58
	s_lshl_b32 s5, s12, 6
	v_add_f32_e32 v10, v15, v10
	v_add_f32_e32 v11, v14, v11
	v_max_f32_e32 v11, 0, v11
	v_max_f32_e32 v10, 0, v10
	v_cvt_f16_f32_e32 v14, v10
	v_cvt_f16_f32_e32 v11, v11
	s_and_b64 s[6:7], s[2:3], vcc
	v_add_u32_e32 v15, s5, v16
	v_cvt_f32_f16_e32 v16, v56
	v_pack_b32_f16 v11, v11, v14
	v_cndmask_b32_e64 v14, v31, 0, s[6:7]
	v_lshl_add_u32 v14, v15, 1, v14
	v_cvt_f32_f16_sdwa v15, v56 dst_sel:DWORD dst_unused:UNUSED_PAD src0_sel:WORD_1
	v_add_f32_e32 v16, v20, v16
	v_cvt_f16_f32_e32 v17, v83
	v_cvt_f16_f32_e32 v19, v86
	v_add_f32_e32 v15, v21, v15
	v_max_f32_e32 v16, 0, v16
	v_max_f32_e32 v15, 0, v15
	v_cvt_f16_f32_e32 v15, v15
	v_cvt_f16_f32_e32 v16, v16
	v_pack_b32_f16 v10, v17, v19
	s_and_b64 s[2:3], s[2:3], s[0:1]
	buffer_store_dwordx2 v[10:11], v14, s[8:11], 0 offen
	v_add_u32_e32 v14, s5, v18
	v_pack_b32_f16 v11, v16, v15
	v_cndmask_b32_e64 v15, v31, 0, s[2:3]
	v_lshl_add_u32 v14, v14, 1, v15
	v_cvt_f32_f16_sdwa v15, v61 dst_sel:DWORD dst_unused:UNUSED_PAD src0_sel:WORD_1
	v_cvt_f32_f16_e32 v16, v61
	v_cvt_f16_f32_e32 v17, v87
	v_cvt_f16_f32_e32 v19, v85
	v_add_f32_e32 v13, v13, v15
	v_add_f32_e32 v12, v12, v16
	v_max_f32_e32 v12, 0, v12
	v_max_f32_e32 v13, 0, v13
	v_cvt_f16_f32_e32 v13, v13
	v_cvt_f16_f32_e32 v12, v12
	v_pack_b32_f16 v10, v17, v19
	buffer_store_dwordx2 v[10:11], v14, s[8:11], 0 offen
	v_cvt_f32_f16_e32 v15, v49
	v_pack_b32_f16 v11, v12, v13
	v_cvt_f32_f16_sdwa v13, v49 dst_sel:DWORD dst_unused:UNUSED_PAD src0_sel:WORD_1
	v_max_f32_e32 v64, 0, v64
	v_max_f32_e32 v66, 0, v66
	v_cvt_f16_f32_e32 v17, v64
	v_cvt_f16_f32_e32 v18, v66
	v_add_f32_e32 v50, v50, v90
	v_add_f32_e32 v9, v9, v13
	v_add_f32_e32 v8, v8, v15
	v_max_f32_e32 v50, 0, v50
	v_max_f32_e32 v51, 0, v51
	v_cmp_ge_i32_e64 s[2:3], s14, v58
	v_max_f32_e32 v8, 0, v8
	v_max_f32_e32 v9, 0, v9
	v_pack_b32_f16 v10, v17, v18
	s_and_b64 s[2:3], s[2:3], s[0:1]
	v_cvt_f16_f32_e32 v16, v50
	v_cvt_f16_f32_e32 v17, v51
	;; [unrolled: 1-line block ×4, first 2 shown]
	v_add_u32_e32 v14, s5, v24
	v_cndmask_b32_e64 v12, v31, 0, s[2:3]
	v_cmp_gt_i32_e64 s[2:3], s14, v46
	v_lshl_add_u32 v12, v14, 1, v12
	s_and_b64 s[2:3], s[2:3], vcc
	buffer_store_dwordx2 v[10:11], v12, s[8:11], 0 offen
	v_subrev_u32_e32 v10, s4, v14
	v_cndmask_b32_e64 v11, v31, 0, s[2:3]
	v_pack_b32_f16 v8, v16, v17
	v_pack_b32_f16 v9, v13, v9
	v_lshl_add_u32 v11, v10, 1, v11
	v_cvt_f32_f16_sdwa v12, v45 dst_sel:DWORD dst_unused:UNUSED_PAD src0_sel:WORD_1
	v_cvt_f32_f16_e32 v13, v45
	buffer_store_dwordx2 v[8:9], v11, s[8:11], 0 offen
	v_subrev_u32_e32 v8, s12, v10
	v_cvt_f32_f16_sdwa v10, v42 dst_sel:DWORD dst_unused:UNUSED_PAD src0_sel:WORD_1
	v_cvt_f32_f16_e32 v11, v42
	v_add_f32_e32 v5, v5, v12
	v_add_f32_e32 v4, v4, v13
	v_max_f32_e32 v4, 0, v4
	v_max_f32_e32 v5, 0, v5
	v_add_f32_e32 v7, v7, v10
	v_add_f32_e32 v6, v6, v11
	v_cvt_f16_f32_e32 v14, v47
	v_cvt_f16_f32_e32 v15, v48
	;; [unrolled: 1-line block ×4, first 2 shown]
	v_max_f32_e32 v6, 0, v6
	v_max_f32_e32 v7, 0, v7
	v_cmp_ge_i32_e64 s[2:3], s14, v46
	v_cvt_f16_f32_e32 v7, v7
	v_cvt_f16_f32_e32 v6, v6
	s_and_b64 s[2:3], s[2:3], vcc
	v_cndmask_b32_e64 v9, v31, 0, s[2:3]
	v_pack_b32_f16 v4, v14, v15
	v_pack_b32_f16 v5, v12, v5
	v_lshl_add_u32 v9, v8, 1, v9
	buffer_store_dwordx2 v[4:5], v9, s[8:11], 0 offen
	v_pack_b32_f16 v5, v6, v7
	v_cvt_f32_f16_sdwa v7, v35 dst_sel:DWORD dst_unused:UNUSED_PAD src0_sel:WORD_1
	v_cvt_f32_f16_e32 v9, v35
	v_cvt_f16_f32_e32 v12, v43
	v_cvt_f16_f32_e32 v13, v44
	v_add_f32_e32 v3, v3, v7
	v_add_f32_e32 v2, v2, v9
	v_max_f32_e32 v2, 0, v2
	v_max_f32_e32 v3, 0, v3
	v_cmp_gt_i32_e64 s[2:3], s14, v30
	v_cvt_f16_f32_e32 v3, v3
	v_cvt_f16_f32_e32 v7, v2
	s_and_b64 s[2:3], s[2:3], s[0:1]
	v_add_u32_e32 v8, s4, v8
	v_cndmask_b32_e64 v6, v31, 0, s[2:3]
	v_pack_b32_f16 v4, v12, v13
	v_lshl_add_u32 v6, v8, 1, v6
	buffer_store_dwordx2 v[4:5], v6, s[8:11], 0 offen
	v_pack_b32_f16 v3, v7, v3
	v_cvt_f32_f16_sdwa v6, v27 dst_sel:DWORD dst_unused:UNUSED_PAD src0_sel:WORD_1
	v_cvt_f32_f16_e32 v7, v27
	v_cvt_f16_f32_e32 v10, v36
	v_cvt_f16_f32_e32 v11, v37
	v_add_f32_e32 v1, v1, v6
	v_add_f32_e32 v0, v0, v7
	v_max_f32_e32 v29, 0, v29
	v_cmp_ge_i32_e64 s[2:3], s14, v30
	v_max_f32_e32 v0, 0, v0
	v_max_f32_e32 v1, 0, v1
	v_subrev_u32_e32 v4, s12, v8
	s_and_b64 s[0:1], s[2:3], s[0:1]
	v_cvt_f16_f32_e32 v8, v28
	v_cvt_f16_f32_e32 v9, v29
	;; [unrolled: 1-line block ×4, first 2 shown]
	v_cndmask_b32_e64 v5, v31, 0, s[0:1]
	v_cmp_gt_i32_e64 s[0:1], s14, v26
	v_pack_b32_f16 v2, v10, v11
	v_lshl_add_u32 v5, v4, 1, v5
	s_and_b64 s[0:1], s[0:1], vcc
	buffer_store_dwordx2 v[2:3], v5, s[8:11], 0 offen
	v_subrev_u32_e32 v2, s4, v4
	v_cndmask_b32_e64 v3, v31, 0, s[0:1]
	v_pack_b32_f16 v0, v8, v9
	v_pack_b32_f16 v1, v6, v1
	v_lshl_add_u32 v2, v2, 1, v3
	buffer_store_dwordx2 v[0:1], v2, s[8:11], 0 offen
	s_endpgm
	.section	.rodata,"a",@progbits
	.p2align	6, 0x0
	.amdhsa_kernel _ZN2ck16tensor_operation6device12_GLOBAL__N_137kernel_grouped_conv_fwd_dl_multiple_dINS_32GridwiseGemmDlMultipleD_km_kn_mnILi256EDF16_fNS_5TupleIJDF16_EEEDF16_NS0_12element_wise11PassThroughES8_NS7_7AddReluELNS_25InMemoryDataOperationEnumE0ENS_16TensorDescriptorINS5_IJNS_5EmbedINS5_IJiiiiEEESD_Lb0EEENS_11PassThroughIiEENS_3PadIiiiLb0EEESI_SG_SG_NSC_INS5_IJiiEEESJ_Lb0EEESK_SG_NS_23Merge_v2_magic_divisionINS5_IJiiiEEEEESN_NS_8RightPadIiiLb0EEESP_NS_7UnMergeISJ_Lb0EEESG_EEENS5_IJNS_8SequenceIJLi0EEEENST_IJLi1EEEENST_IJLi2EEEENST_IJLi3EEEENST_IJLi4EEEENST_IJLi5EEEENST_IJLi6EEEENST_IJLi7EEEENST_IJLi8EEEENST_IJLi9ELi11ELi13EEEENST_IJLi10ELi12ELi14EEEENST_IJLi15EEEENST_IJLi16EEEENST_IJLi18EEEENST_IJLi17EEEEEEENS5_IJNST_IJLi1ELi2ELi3ELi4EEEESZ_S10_S11_S12_NST_IJLi9EEEENST_IJLi10ELi11EEEENST_IJLi12ELi13EEEENST_IJLi14EEEES15_S16_S18_S17_NST_IJLi19ELi20EEEENST_IJLi21EEEEEEENST_IJLi19ELi21ELi20EEEElEENSB_INS5_IJSR_SP_SP_SR_SG_EEENS5_IJSU_SV_SW_SY_SX_EEENS5_IJNST_IJLi1ELi2EEEESX_SY_NST_IJLi5ELi6EEEES11_EEENST_IJLi5ELi7ELi6EEEElEENSB_INS5_IJSK_SP_SP_EEENS5_IJSU_SV_SW_EEENS5_IJS1M_SX_SY_EEENST_IJLi3ELi4EEEElEELi128ELi128ELi16ELi2ELi4ELi4ELi1ENST_IJLi8ELi2EEEES1W_NST_IJLi8ELi1ELi1ELi2EEEENST_IJLi2ELi1ELi128ELi1EEEENST_IJLi1ELi2ELi0ELi3EEEES1Z_NST_IJLi4ELi1ELi1ELi2EEEES1Z_NST_IJLi1ELi1ELi1ELi2EEEES1X_S1Y_S1Z_S1Z_S20_S1Z_S21_NST_IJLi0ELi1ELi2ELi3ELi4ELi5EEEELi5ELi4EEEDF16_NS5_IJPKDF16_EEEDF16_S8_S8_S9_NSB_INS5_IJSE_SG_SI_SI_SG_SG_SK_SK_SG_SN_SN_SP_SP_SR_SG_SG_NSQ_INS5_IJiNS_17integral_constantIiLi128EEEEEELb0EEENSF_INS27_IiLi2EEEEEEEENS5_IJSU_SV_SW_SX_SY_SZ_S10_S11_S12_S13_S14_S15_S16_S17_S18_NST_IJLi19EEEES1G_NST_IJLi20EEEEEEENS5_IJS1A_SZ_S10_S11_S12_S1B_S1C_S1D_S1E_S15_S16_S18_S17_S1F_S1G_NST_IJLi22EEEENST_IJLi23ELi24EEEENST_IJLi25EEEEEEENST_IJLi22ELi23ELi24ELi25EEEElEENSB_INS5_IJSR_SP_SP_SR_SG_SG_S2A_S2C_EEENS5_IJSU_SV_SW_SY_SX_SZ_S11_S10_EEENS5_IJS1M_SX_SY_S1N_S11_S12_NST_IJLi9ELi10EEEENST_IJLi11EEEEEEENST_IJLi8ELi9ELi10ELi11EEEElEENS5_IJNSB_INS5_IJSK_SP_SP_NSQ_INS5_IJiS2B_NS27_IiLi64EEEEEELb0EEES2W_EEENS5_IJSU_SV_SW_SX_SY_EEENS5_IJS1M_SX_SY_NST_IJLi5ELi6ELi7EEEENST_IJLi8ELi9ELi10EEEEEEENST_IJLi5ELi6ELi7ELi8ELi9ELi10EEEElEEEEES33_NS_31BlockToCTileMap_M00_N00_M01_N01ILi128ELi128ES1V_Lb0EEENS1_30ComputePtrOffsetOfStridedBatchILi1ELi1ELi1EvEELb0ELb1EEEvPKT0_S3B_T1_PT2_T3_T4_T5_iT6_T7_T8_T9_T10_T11_
		.amdhsa_group_segment_fixed_size 32768
		.amdhsa_private_segment_fixed_size 0
		.amdhsa_kernarg_size 968
		.amdhsa_user_sgpr_count 6
		.amdhsa_user_sgpr_private_segment_buffer 1
		.amdhsa_user_sgpr_dispatch_ptr 0
		.amdhsa_user_sgpr_queue_ptr 0
		.amdhsa_user_sgpr_kernarg_segment_ptr 1
		.amdhsa_user_sgpr_dispatch_id 0
		.amdhsa_user_sgpr_flat_scratch_init 0
		.amdhsa_user_sgpr_private_segment_size 0
		.amdhsa_uses_dynamic_stack 0
		.amdhsa_system_sgpr_private_segment_wavefront_offset 0
		.amdhsa_system_sgpr_workgroup_id_x 1
		.amdhsa_system_sgpr_workgroup_id_y 0
		.amdhsa_system_sgpr_workgroup_id_z 0
		.amdhsa_system_sgpr_workgroup_info 0
		.amdhsa_system_vgpr_workitem_id 0
		.amdhsa_next_free_vgpr 125
		.amdhsa_next_free_sgpr 98
		.amdhsa_reserve_vcc 1
		.amdhsa_reserve_flat_scratch 0
		.amdhsa_float_round_mode_32 0
		.amdhsa_float_round_mode_16_64 0
		.amdhsa_float_denorm_mode_32 3
		.amdhsa_float_denorm_mode_16_64 3
		.amdhsa_dx10_clamp 1
		.amdhsa_ieee_mode 1
		.amdhsa_fp16_overflow 0
		.amdhsa_exception_fp_ieee_invalid_op 0
		.amdhsa_exception_fp_denorm_src 0
		.amdhsa_exception_fp_ieee_div_zero 0
		.amdhsa_exception_fp_ieee_overflow 0
		.amdhsa_exception_fp_ieee_underflow 0
		.amdhsa_exception_fp_ieee_inexact 0
		.amdhsa_exception_int_div_zero 0
	.end_amdhsa_kernel
	.section	.text._ZN2ck16tensor_operation6device12_GLOBAL__N_137kernel_grouped_conv_fwd_dl_multiple_dINS_32GridwiseGemmDlMultipleD_km_kn_mnILi256EDF16_fNS_5TupleIJDF16_EEEDF16_NS0_12element_wise11PassThroughES8_NS7_7AddReluELNS_25InMemoryDataOperationEnumE0ENS_16TensorDescriptorINS5_IJNS_5EmbedINS5_IJiiiiEEESD_Lb0EEENS_11PassThroughIiEENS_3PadIiiiLb0EEESI_SG_SG_NSC_INS5_IJiiEEESJ_Lb0EEESK_SG_NS_23Merge_v2_magic_divisionINS5_IJiiiEEEEESN_NS_8RightPadIiiLb0EEESP_NS_7UnMergeISJ_Lb0EEESG_EEENS5_IJNS_8SequenceIJLi0EEEENST_IJLi1EEEENST_IJLi2EEEENST_IJLi3EEEENST_IJLi4EEEENST_IJLi5EEEENST_IJLi6EEEENST_IJLi7EEEENST_IJLi8EEEENST_IJLi9ELi11ELi13EEEENST_IJLi10ELi12ELi14EEEENST_IJLi15EEEENST_IJLi16EEEENST_IJLi18EEEENST_IJLi17EEEEEEENS5_IJNST_IJLi1ELi2ELi3ELi4EEEESZ_S10_S11_S12_NST_IJLi9EEEENST_IJLi10ELi11EEEENST_IJLi12ELi13EEEENST_IJLi14EEEES15_S16_S18_S17_NST_IJLi19ELi20EEEENST_IJLi21EEEEEEENST_IJLi19ELi21ELi20EEEElEENSB_INS5_IJSR_SP_SP_SR_SG_EEENS5_IJSU_SV_SW_SY_SX_EEENS5_IJNST_IJLi1ELi2EEEESX_SY_NST_IJLi5ELi6EEEES11_EEENST_IJLi5ELi7ELi6EEEElEENSB_INS5_IJSK_SP_SP_EEENS5_IJSU_SV_SW_EEENS5_IJS1M_SX_SY_EEENST_IJLi3ELi4EEEElEELi128ELi128ELi16ELi2ELi4ELi4ELi1ENST_IJLi8ELi2EEEES1W_NST_IJLi8ELi1ELi1ELi2EEEENST_IJLi2ELi1ELi128ELi1EEEENST_IJLi1ELi2ELi0ELi3EEEES1Z_NST_IJLi4ELi1ELi1ELi2EEEES1Z_NST_IJLi1ELi1ELi1ELi2EEEES1X_S1Y_S1Z_S1Z_S20_S1Z_S21_NST_IJLi0ELi1ELi2ELi3ELi4ELi5EEEELi5ELi4EEEDF16_NS5_IJPKDF16_EEEDF16_S8_S8_S9_NSB_INS5_IJSE_SG_SI_SI_SG_SG_SK_SK_SG_SN_SN_SP_SP_SR_SG_SG_NSQ_INS5_IJiNS_17integral_constantIiLi128EEEEEELb0EEENSF_INS27_IiLi2EEEEEEEENS5_IJSU_SV_SW_SX_SY_SZ_S10_S11_S12_S13_S14_S15_S16_S17_S18_NST_IJLi19EEEES1G_NST_IJLi20EEEEEEENS5_IJS1A_SZ_S10_S11_S12_S1B_S1C_S1D_S1E_S15_S16_S18_S17_S1F_S1G_NST_IJLi22EEEENST_IJLi23ELi24EEEENST_IJLi25EEEEEEENST_IJLi22ELi23ELi24ELi25EEEElEENSB_INS5_IJSR_SP_SP_SR_SG_SG_S2A_S2C_EEENS5_IJSU_SV_SW_SY_SX_SZ_S11_S10_EEENS5_IJS1M_SX_SY_S1N_S11_S12_NST_IJLi9ELi10EEEENST_IJLi11EEEEEEENST_IJLi8ELi9ELi10ELi11EEEElEENS5_IJNSB_INS5_IJSK_SP_SP_NSQ_INS5_IJiS2B_NS27_IiLi64EEEEEELb0EEES2W_EEENS5_IJSU_SV_SW_SX_SY_EEENS5_IJS1M_SX_SY_NST_IJLi5ELi6ELi7EEEENST_IJLi8ELi9ELi10EEEEEEENST_IJLi5ELi6ELi7ELi8ELi9ELi10EEEElEEEEES33_NS_31BlockToCTileMap_M00_N00_M01_N01ILi128ELi128ES1V_Lb0EEENS1_30ComputePtrOffsetOfStridedBatchILi1ELi1ELi1EvEELb0ELb1EEEvPKT0_S3B_T1_PT2_T3_T4_T5_iT6_T7_T8_T9_T10_T11_,"axG",@progbits,_ZN2ck16tensor_operation6device12_GLOBAL__N_137kernel_grouped_conv_fwd_dl_multiple_dINS_32GridwiseGemmDlMultipleD_km_kn_mnILi256EDF16_fNS_5TupleIJDF16_EEEDF16_NS0_12element_wise11PassThroughES8_NS7_7AddReluELNS_25InMemoryDataOperationEnumE0ENS_16TensorDescriptorINS5_IJNS_5EmbedINS5_IJiiiiEEESD_Lb0EEENS_11PassThroughIiEENS_3PadIiiiLb0EEESI_SG_SG_NSC_INS5_IJiiEEESJ_Lb0EEESK_SG_NS_23Merge_v2_magic_divisionINS5_IJiiiEEEEESN_NS_8RightPadIiiLb0EEESP_NS_7UnMergeISJ_Lb0EEESG_EEENS5_IJNS_8SequenceIJLi0EEEENST_IJLi1EEEENST_IJLi2EEEENST_IJLi3EEEENST_IJLi4EEEENST_IJLi5EEEENST_IJLi6EEEENST_IJLi7EEEENST_IJLi8EEEENST_IJLi9ELi11ELi13EEEENST_IJLi10ELi12ELi14EEEENST_IJLi15EEEENST_IJLi16EEEENST_IJLi18EEEENST_IJLi17EEEEEEENS5_IJNST_IJLi1ELi2ELi3ELi4EEEESZ_S10_S11_S12_NST_IJLi9EEEENST_IJLi10ELi11EEEENST_IJLi12ELi13EEEENST_IJLi14EEEES15_S16_S18_S17_NST_IJLi19ELi20EEEENST_IJLi21EEEEEEENST_IJLi19ELi21ELi20EEEElEENSB_INS5_IJSR_SP_SP_SR_SG_EEENS5_IJSU_SV_SW_SY_SX_EEENS5_IJNST_IJLi1ELi2EEEESX_SY_NST_IJLi5ELi6EEEES11_EEENST_IJLi5ELi7ELi6EEEElEENSB_INS5_IJSK_SP_SP_EEENS5_IJSU_SV_SW_EEENS5_IJS1M_SX_SY_EEENST_IJLi3ELi4EEEElEELi128ELi128ELi16ELi2ELi4ELi4ELi1ENST_IJLi8ELi2EEEES1W_NST_IJLi8ELi1ELi1ELi2EEEENST_IJLi2ELi1ELi128ELi1EEEENST_IJLi1ELi2ELi0ELi3EEEES1Z_NST_IJLi4ELi1ELi1ELi2EEEES1Z_NST_IJLi1ELi1ELi1ELi2EEEES1X_S1Y_S1Z_S1Z_S20_S1Z_S21_NST_IJLi0ELi1ELi2ELi3ELi4ELi5EEEELi5ELi4EEEDF16_NS5_IJPKDF16_EEEDF16_S8_S8_S9_NSB_INS5_IJSE_SG_SI_SI_SG_SG_SK_SK_SG_SN_SN_SP_SP_SR_SG_SG_NSQ_INS5_IJiNS_17integral_constantIiLi128EEEEEELb0EEENSF_INS27_IiLi2EEEEEEEENS5_IJSU_SV_SW_SX_SY_SZ_S10_S11_S12_S13_S14_S15_S16_S17_S18_NST_IJLi19EEEES1G_NST_IJLi20EEEEEEENS5_IJS1A_SZ_S10_S11_S12_S1B_S1C_S1D_S1E_S15_S16_S18_S17_S1F_S1G_NST_IJLi22EEEENST_IJLi23ELi24EEEENST_IJLi25EEEEEEENST_IJLi22ELi23ELi24ELi25EEEElEENSB_INS5_IJSR_SP_SP_SR_SG_SG_S2A_S2C_EEENS5_IJSU_SV_SW_SY_SX_SZ_S11_S10_EEENS5_IJS1M_SX_SY_S1N_S11_S12_NST_IJLi9ELi10EEEENST_IJLi11EEEEEEENST_IJLi8ELi9ELi10ELi11EEEElEENS5_IJNSB_INS5_IJSK_SP_SP_NSQ_INS5_IJiS2B_NS27_IiLi64EEEEEELb0EEES2W_EEENS5_IJSU_SV_SW_SX_SY_EEENS5_IJS1M_SX_SY_NST_IJLi5ELi6ELi7EEEENST_IJLi8ELi9ELi10EEEEEEENST_IJLi5ELi6ELi7ELi8ELi9ELi10EEEElEEEEES33_NS_31BlockToCTileMap_M00_N00_M01_N01ILi128ELi128ES1V_Lb0EEENS1_30ComputePtrOffsetOfStridedBatchILi1ELi1ELi1EvEELb0ELb1EEEvPKT0_S3B_T1_PT2_T3_T4_T5_iT6_T7_T8_T9_T10_T11_,comdat
.Lfunc_end7:
	.size	_ZN2ck16tensor_operation6device12_GLOBAL__N_137kernel_grouped_conv_fwd_dl_multiple_dINS_32GridwiseGemmDlMultipleD_km_kn_mnILi256EDF16_fNS_5TupleIJDF16_EEEDF16_NS0_12element_wise11PassThroughES8_NS7_7AddReluELNS_25InMemoryDataOperationEnumE0ENS_16TensorDescriptorINS5_IJNS_5EmbedINS5_IJiiiiEEESD_Lb0EEENS_11PassThroughIiEENS_3PadIiiiLb0EEESI_SG_SG_NSC_INS5_IJiiEEESJ_Lb0EEESK_SG_NS_23Merge_v2_magic_divisionINS5_IJiiiEEEEESN_NS_8RightPadIiiLb0EEESP_NS_7UnMergeISJ_Lb0EEESG_EEENS5_IJNS_8SequenceIJLi0EEEENST_IJLi1EEEENST_IJLi2EEEENST_IJLi3EEEENST_IJLi4EEEENST_IJLi5EEEENST_IJLi6EEEENST_IJLi7EEEENST_IJLi8EEEENST_IJLi9ELi11ELi13EEEENST_IJLi10ELi12ELi14EEEENST_IJLi15EEEENST_IJLi16EEEENST_IJLi18EEEENST_IJLi17EEEEEEENS5_IJNST_IJLi1ELi2ELi3ELi4EEEESZ_S10_S11_S12_NST_IJLi9EEEENST_IJLi10ELi11EEEENST_IJLi12ELi13EEEENST_IJLi14EEEES15_S16_S18_S17_NST_IJLi19ELi20EEEENST_IJLi21EEEEEEENST_IJLi19ELi21ELi20EEEElEENSB_INS5_IJSR_SP_SP_SR_SG_EEENS5_IJSU_SV_SW_SY_SX_EEENS5_IJNST_IJLi1ELi2EEEESX_SY_NST_IJLi5ELi6EEEES11_EEENST_IJLi5ELi7ELi6EEEElEENSB_INS5_IJSK_SP_SP_EEENS5_IJSU_SV_SW_EEENS5_IJS1M_SX_SY_EEENST_IJLi3ELi4EEEElEELi128ELi128ELi16ELi2ELi4ELi4ELi1ENST_IJLi8ELi2EEEES1W_NST_IJLi8ELi1ELi1ELi2EEEENST_IJLi2ELi1ELi128ELi1EEEENST_IJLi1ELi2ELi0ELi3EEEES1Z_NST_IJLi4ELi1ELi1ELi2EEEES1Z_NST_IJLi1ELi1ELi1ELi2EEEES1X_S1Y_S1Z_S1Z_S20_S1Z_S21_NST_IJLi0ELi1ELi2ELi3ELi4ELi5EEEELi5ELi4EEEDF16_NS5_IJPKDF16_EEEDF16_S8_S8_S9_NSB_INS5_IJSE_SG_SI_SI_SG_SG_SK_SK_SG_SN_SN_SP_SP_SR_SG_SG_NSQ_INS5_IJiNS_17integral_constantIiLi128EEEEEELb0EEENSF_INS27_IiLi2EEEEEEEENS5_IJSU_SV_SW_SX_SY_SZ_S10_S11_S12_S13_S14_S15_S16_S17_S18_NST_IJLi19EEEES1G_NST_IJLi20EEEEEEENS5_IJS1A_SZ_S10_S11_S12_S1B_S1C_S1D_S1E_S15_S16_S18_S17_S1F_S1G_NST_IJLi22EEEENST_IJLi23ELi24EEEENST_IJLi25EEEEEEENST_IJLi22ELi23ELi24ELi25EEEElEENSB_INS5_IJSR_SP_SP_SR_SG_SG_S2A_S2C_EEENS5_IJSU_SV_SW_SY_SX_SZ_S11_S10_EEENS5_IJS1M_SX_SY_S1N_S11_S12_NST_IJLi9ELi10EEEENST_IJLi11EEEEEEENST_IJLi8ELi9ELi10ELi11EEEElEENS5_IJNSB_INS5_IJSK_SP_SP_NSQ_INS5_IJiS2B_NS27_IiLi64EEEEEELb0EEES2W_EEENS5_IJSU_SV_SW_SX_SY_EEENS5_IJS1M_SX_SY_NST_IJLi5ELi6ELi7EEEENST_IJLi8ELi9ELi10EEEEEEENST_IJLi5ELi6ELi7ELi8ELi9ELi10EEEElEEEEES33_NS_31BlockToCTileMap_M00_N00_M01_N01ILi128ELi128ES1V_Lb0EEENS1_30ComputePtrOffsetOfStridedBatchILi1ELi1ELi1EvEELb0ELb1EEEvPKT0_S3B_T1_PT2_T3_T4_T5_iT6_T7_T8_T9_T10_T11_, .Lfunc_end7-_ZN2ck16tensor_operation6device12_GLOBAL__N_137kernel_grouped_conv_fwd_dl_multiple_dINS_32GridwiseGemmDlMultipleD_km_kn_mnILi256EDF16_fNS_5TupleIJDF16_EEEDF16_NS0_12element_wise11PassThroughES8_NS7_7AddReluELNS_25InMemoryDataOperationEnumE0ENS_16TensorDescriptorINS5_IJNS_5EmbedINS5_IJiiiiEEESD_Lb0EEENS_11PassThroughIiEENS_3PadIiiiLb0EEESI_SG_SG_NSC_INS5_IJiiEEESJ_Lb0EEESK_SG_NS_23Merge_v2_magic_divisionINS5_IJiiiEEEEESN_NS_8RightPadIiiLb0EEESP_NS_7UnMergeISJ_Lb0EEESG_EEENS5_IJNS_8SequenceIJLi0EEEENST_IJLi1EEEENST_IJLi2EEEENST_IJLi3EEEENST_IJLi4EEEENST_IJLi5EEEENST_IJLi6EEEENST_IJLi7EEEENST_IJLi8EEEENST_IJLi9ELi11ELi13EEEENST_IJLi10ELi12ELi14EEEENST_IJLi15EEEENST_IJLi16EEEENST_IJLi18EEEENST_IJLi17EEEEEEENS5_IJNST_IJLi1ELi2ELi3ELi4EEEESZ_S10_S11_S12_NST_IJLi9EEEENST_IJLi10ELi11EEEENST_IJLi12ELi13EEEENST_IJLi14EEEES15_S16_S18_S17_NST_IJLi19ELi20EEEENST_IJLi21EEEEEEENST_IJLi19ELi21ELi20EEEElEENSB_INS5_IJSR_SP_SP_SR_SG_EEENS5_IJSU_SV_SW_SY_SX_EEENS5_IJNST_IJLi1ELi2EEEESX_SY_NST_IJLi5ELi6EEEES11_EEENST_IJLi5ELi7ELi6EEEElEENSB_INS5_IJSK_SP_SP_EEENS5_IJSU_SV_SW_EEENS5_IJS1M_SX_SY_EEENST_IJLi3ELi4EEEElEELi128ELi128ELi16ELi2ELi4ELi4ELi1ENST_IJLi8ELi2EEEES1W_NST_IJLi8ELi1ELi1ELi2EEEENST_IJLi2ELi1ELi128ELi1EEEENST_IJLi1ELi2ELi0ELi3EEEES1Z_NST_IJLi4ELi1ELi1ELi2EEEES1Z_NST_IJLi1ELi1ELi1ELi2EEEES1X_S1Y_S1Z_S1Z_S20_S1Z_S21_NST_IJLi0ELi1ELi2ELi3ELi4ELi5EEEELi5ELi4EEEDF16_NS5_IJPKDF16_EEEDF16_S8_S8_S9_NSB_INS5_IJSE_SG_SI_SI_SG_SG_SK_SK_SG_SN_SN_SP_SP_SR_SG_SG_NSQ_INS5_IJiNS_17integral_constantIiLi128EEEEEELb0EEENSF_INS27_IiLi2EEEEEEEENS5_IJSU_SV_SW_SX_SY_SZ_S10_S11_S12_S13_S14_S15_S16_S17_S18_NST_IJLi19EEEES1G_NST_IJLi20EEEEEEENS5_IJS1A_SZ_S10_S11_S12_S1B_S1C_S1D_S1E_S15_S16_S18_S17_S1F_S1G_NST_IJLi22EEEENST_IJLi23ELi24EEEENST_IJLi25EEEEEEENST_IJLi22ELi23ELi24ELi25EEEElEENSB_INS5_IJSR_SP_SP_SR_SG_SG_S2A_S2C_EEENS5_IJSU_SV_SW_SY_SX_SZ_S11_S10_EEENS5_IJS1M_SX_SY_S1N_S11_S12_NST_IJLi9ELi10EEEENST_IJLi11EEEEEEENST_IJLi8ELi9ELi10ELi11EEEElEENS5_IJNSB_INS5_IJSK_SP_SP_NSQ_INS5_IJiS2B_NS27_IiLi64EEEEEELb0EEES2W_EEENS5_IJSU_SV_SW_SX_SY_EEENS5_IJS1M_SX_SY_NST_IJLi5ELi6ELi7EEEENST_IJLi8ELi9ELi10EEEEEEENST_IJLi5ELi6ELi7ELi8ELi9ELi10EEEElEEEEES33_NS_31BlockToCTileMap_M00_N00_M01_N01ILi128ELi128ES1V_Lb0EEENS1_30ComputePtrOffsetOfStridedBatchILi1ELi1ELi1EvEELb0ELb1EEEvPKT0_S3B_T1_PT2_T3_T4_T5_iT6_T7_T8_T9_T10_T11_
                                        ; -- End function
	.set _ZN2ck16tensor_operation6device12_GLOBAL__N_137kernel_grouped_conv_fwd_dl_multiple_dINS_32GridwiseGemmDlMultipleD_km_kn_mnILi256EDF16_fNS_5TupleIJDF16_EEEDF16_NS0_12element_wise11PassThroughES8_NS7_7AddReluELNS_25InMemoryDataOperationEnumE0ENS_16TensorDescriptorINS5_IJNS_5EmbedINS5_IJiiiiEEESD_Lb0EEENS_11PassThroughIiEENS_3PadIiiiLb0EEESI_SG_SG_NSC_INS5_IJiiEEESJ_Lb0EEESK_SG_NS_23Merge_v2_magic_divisionINS5_IJiiiEEEEESN_NS_8RightPadIiiLb0EEESP_NS_7UnMergeISJ_Lb0EEESG_EEENS5_IJNS_8SequenceIJLi0EEEENST_IJLi1EEEENST_IJLi2EEEENST_IJLi3EEEENST_IJLi4EEEENST_IJLi5EEEENST_IJLi6EEEENST_IJLi7EEEENST_IJLi8EEEENST_IJLi9ELi11ELi13EEEENST_IJLi10ELi12ELi14EEEENST_IJLi15EEEENST_IJLi16EEEENST_IJLi18EEEENST_IJLi17EEEEEEENS5_IJNST_IJLi1ELi2ELi3ELi4EEEESZ_S10_S11_S12_NST_IJLi9EEEENST_IJLi10ELi11EEEENST_IJLi12ELi13EEEENST_IJLi14EEEES15_S16_S18_S17_NST_IJLi19ELi20EEEENST_IJLi21EEEEEEENST_IJLi19ELi21ELi20EEEElEENSB_INS5_IJSR_SP_SP_SR_SG_EEENS5_IJSU_SV_SW_SY_SX_EEENS5_IJNST_IJLi1ELi2EEEESX_SY_NST_IJLi5ELi6EEEES11_EEENST_IJLi5ELi7ELi6EEEElEENSB_INS5_IJSK_SP_SP_EEENS5_IJSU_SV_SW_EEENS5_IJS1M_SX_SY_EEENST_IJLi3ELi4EEEElEELi128ELi128ELi16ELi2ELi4ELi4ELi1ENST_IJLi8ELi2EEEES1W_NST_IJLi8ELi1ELi1ELi2EEEENST_IJLi2ELi1ELi128ELi1EEEENST_IJLi1ELi2ELi0ELi3EEEES1Z_NST_IJLi4ELi1ELi1ELi2EEEES1Z_NST_IJLi1ELi1ELi1ELi2EEEES1X_S1Y_S1Z_S1Z_S20_S1Z_S21_NST_IJLi0ELi1ELi2ELi3ELi4ELi5EEEELi5ELi4EEEDF16_NS5_IJPKDF16_EEEDF16_S8_S8_S9_NSB_INS5_IJSE_SG_SI_SI_SG_SG_SK_SK_SG_SN_SN_SP_SP_SR_SG_SG_NSQ_INS5_IJiNS_17integral_constantIiLi128EEEEEELb0EEENSF_INS27_IiLi2EEEEEEEENS5_IJSU_SV_SW_SX_SY_SZ_S10_S11_S12_S13_S14_S15_S16_S17_S18_NST_IJLi19EEEES1G_NST_IJLi20EEEEEEENS5_IJS1A_SZ_S10_S11_S12_S1B_S1C_S1D_S1E_S15_S16_S18_S17_S1F_S1G_NST_IJLi22EEEENST_IJLi23ELi24EEEENST_IJLi25EEEEEEENST_IJLi22ELi23ELi24ELi25EEEElEENSB_INS5_IJSR_SP_SP_SR_SG_SG_S2A_S2C_EEENS5_IJSU_SV_SW_SY_SX_SZ_S11_S10_EEENS5_IJS1M_SX_SY_S1N_S11_S12_NST_IJLi9ELi10EEEENST_IJLi11EEEEEEENST_IJLi8ELi9ELi10ELi11EEEElEENS5_IJNSB_INS5_IJSK_SP_SP_NSQ_INS5_IJiS2B_NS27_IiLi64EEEEEELb0EEES2W_EEENS5_IJSU_SV_SW_SX_SY_EEENS5_IJS1M_SX_SY_NST_IJLi5ELi6ELi7EEEENST_IJLi8ELi9ELi10EEEEEEENST_IJLi5ELi6ELi7ELi8ELi9ELi10EEEElEEEEES33_NS_31BlockToCTileMap_M00_N00_M01_N01ILi128ELi128ES1V_Lb0EEENS1_30ComputePtrOffsetOfStridedBatchILi1ELi1ELi1EvEELb0ELb1EEEvPKT0_S3B_T1_PT2_T3_T4_T5_iT6_T7_T8_T9_T10_T11_.num_vgpr, 125
	.set _ZN2ck16tensor_operation6device12_GLOBAL__N_137kernel_grouped_conv_fwd_dl_multiple_dINS_32GridwiseGemmDlMultipleD_km_kn_mnILi256EDF16_fNS_5TupleIJDF16_EEEDF16_NS0_12element_wise11PassThroughES8_NS7_7AddReluELNS_25InMemoryDataOperationEnumE0ENS_16TensorDescriptorINS5_IJNS_5EmbedINS5_IJiiiiEEESD_Lb0EEENS_11PassThroughIiEENS_3PadIiiiLb0EEESI_SG_SG_NSC_INS5_IJiiEEESJ_Lb0EEESK_SG_NS_23Merge_v2_magic_divisionINS5_IJiiiEEEEESN_NS_8RightPadIiiLb0EEESP_NS_7UnMergeISJ_Lb0EEESG_EEENS5_IJNS_8SequenceIJLi0EEEENST_IJLi1EEEENST_IJLi2EEEENST_IJLi3EEEENST_IJLi4EEEENST_IJLi5EEEENST_IJLi6EEEENST_IJLi7EEEENST_IJLi8EEEENST_IJLi9ELi11ELi13EEEENST_IJLi10ELi12ELi14EEEENST_IJLi15EEEENST_IJLi16EEEENST_IJLi18EEEENST_IJLi17EEEEEEENS5_IJNST_IJLi1ELi2ELi3ELi4EEEESZ_S10_S11_S12_NST_IJLi9EEEENST_IJLi10ELi11EEEENST_IJLi12ELi13EEEENST_IJLi14EEEES15_S16_S18_S17_NST_IJLi19ELi20EEEENST_IJLi21EEEEEEENST_IJLi19ELi21ELi20EEEElEENSB_INS5_IJSR_SP_SP_SR_SG_EEENS5_IJSU_SV_SW_SY_SX_EEENS5_IJNST_IJLi1ELi2EEEESX_SY_NST_IJLi5ELi6EEEES11_EEENST_IJLi5ELi7ELi6EEEElEENSB_INS5_IJSK_SP_SP_EEENS5_IJSU_SV_SW_EEENS5_IJS1M_SX_SY_EEENST_IJLi3ELi4EEEElEELi128ELi128ELi16ELi2ELi4ELi4ELi1ENST_IJLi8ELi2EEEES1W_NST_IJLi8ELi1ELi1ELi2EEEENST_IJLi2ELi1ELi128ELi1EEEENST_IJLi1ELi2ELi0ELi3EEEES1Z_NST_IJLi4ELi1ELi1ELi2EEEES1Z_NST_IJLi1ELi1ELi1ELi2EEEES1X_S1Y_S1Z_S1Z_S20_S1Z_S21_NST_IJLi0ELi1ELi2ELi3ELi4ELi5EEEELi5ELi4EEEDF16_NS5_IJPKDF16_EEEDF16_S8_S8_S9_NSB_INS5_IJSE_SG_SI_SI_SG_SG_SK_SK_SG_SN_SN_SP_SP_SR_SG_SG_NSQ_INS5_IJiNS_17integral_constantIiLi128EEEEEELb0EEENSF_INS27_IiLi2EEEEEEEENS5_IJSU_SV_SW_SX_SY_SZ_S10_S11_S12_S13_S14_S15_S16_S17_S18_NST_IJLi19EEEES1G_NST_IJLi20EEEEEEENS5_IJS1A_SZ_S10_S11_S12_S1B_S1C_S1D_S1E_S15_S16_S18_S17_S1F_S1G_NST_IJLi22EEEENST_IJLi23ELi24EEEENST_IJLi25EEEEEEENST_IJLi22ELi23ELi24ELi25EEEElEENSB_INS5_IJSR_SP_SP_SR_SG_SG_S2A_S2C_EEENS5_IJSU_SV_SW_SY_SX_SZ_S11_S10_EEENS5_IJS1M_SX_SY_S1N_S11_S12_NST_IJLi9ELi10EEEENST_IJLi11EEEEEEENST_IJLi8ELi9ELi10ELi11EEEElEENS5_IJNSB_INS5_IJSK_SP_SP_NSQ_INS5_IJiS2B_NS27_IiLi64EEEEEELb0EEES2W_EEENS5_IJSU_SV_SW_SX_SY_EEENS5_IJS1M_SX_SY_NST_IJLi5ELi6ELi7EEEENST_IJLi8ELi9ELi10EEEEEEENST_IJLi5ELi6ELi7ELi8ELi9ELi10EEEElEEEEES33_NS_31BlockToCTileMap_M00_N00_M01_N01ILi128ELi128ES1V_Lb0EEENS1_30ComputePtrOffsetOfStridedBatchILi1ELi1ELi1EvEELb0ELb1EEEvPKT0_S3B_T1_PT2_T3_T4_T5_iT6_T7_T8_T9_T10_T11_.num_agpr, 0
	.set _ZN2ck16tensor_operation6device12_GLOBAL__N_137kernel_grouped_conv_fwd_dl_multiple_dINS_32GridwiseGemmDlMultipleD_km_kn_mnILi256EDF16_fNS_5TupleIJDF16_EEEDF16_NS0_12element_wise11PassThroughES8_NS7_7AddReluELNS_25InMemoryDataOperationEnumE0ENS_16TensorDescriptorINS5_IJNS_5EmbedINS5_IJiiiiEEESD_Lb0EEENS_11PassThroughIiEENS_3PadIiiiLb0EEESI_SG_SG_NSC_INS5_IJiiEEESJ_Lb0EEESK_SG_NS_23Merge_v2_magic_divisionINS5_IJiiiEEEEESN_NS_8RightPadIiiLb0EEESP_NS_7UnMergeISJ_Lb0EEESG_EEENS5_IJNS_8SequenceIJLi0EEEENST_IJLi1EEEENST_IJLi2EEEENST_IJLi3EEEENST_IJLi4EEEENST_IJLi5EEEENST_IJLi6EEEENST_IJLi7EEEENST_IJLi8EEEENST_IJLi9ELi11ELi13EEEENST_IJLi10ELi12ELi14EEEENST_IJLi15EEEENST_IJLi16EEEENST_IJLi18EEEENST_IJLi17EEEEEEENS5_IJNST_IJLi1ELi2ELi3ELi4EEEESZ_S10_S11_S12_NST_IJLi9EEEENST_IJLi10ELi11EEEENST_IJLi12ELi13EEEENST_IJLi14EEEES15_S16_S18_S17_NST_IJLi19ELi20EEEENST_IJLi21EEEEEEENST_IJLi19ELi21ELi20EEEElEENSB_INS5_IJSR_SP_SP_SR_SG_EEENS5_IJSU_SV_SW_SY_SX_EEENS5_IJNST_IJLi1ELi2EEEESX_SY_NST_IJLi5ELi6EEEES11_EEENST_IJLi5ELi7ELi6EEEElEENSB_INS5_IJSK_SP_SP_EEENS5_IJSU_SV_SW_EEENS5_IJS1M_SX_SY_EEENST_IJLi3ELi4EEEElEELi128ELi128ELi16ELi2ELi4ELi4ELi1ENST_IJLi8ELi2EEEES1W_NST_IJLi8ELi1ELi1ELi2EEEENST_IJLi2ELi1ELi128ELi1EEEENST_IJLi1ELi2ELi0ELi3EEEES1Z_NST_IJLi4ELi1ELi1ELi2EEEES1Z_NST_IJLi1ELi1ELi1ELi2EEEES1X_S1Y_S1Z_S1Z_S20_S1Z_S21_NST_IJLi0ELi1ELi2ELi3ELi4ELi5EEEELi5ELi4EEEDF16_NS5_IJPKDF16_EEEDF16_S8_S8_S9_NSB_INS5_IJSE_SG_SI_SI_SG_SG_SK_SK_SG_SN_SN_SP_SP_SR_SG_SG_NSQ_INS5_IJiNS_17integral_constantIiLi128EEEEEELb0EEENSF_INS27_IiLi2EEEEEEEENS5_IJSU_SV_SW_SX_SY_SZ_S10_S11_S12_S13_S14_S15_S16_S17_S18_NST_IJLi19EEEES1G_NST_IJLi20EEEEEEENS5_IJS1A_SZ_S10_S11_S12_S1B_S1C_S1D_S1E_S15_S16_S18_S17_S1F_S1G_NST_IJLi22EEEENST_IJLi23ELi24EEEENST_IJLi25EEEEEEENST_IJLi22ELi23ELi24ELi25EEEElEENSB_INS5_IJSR_SP_SP_SR_SG_SG_S2A_S2C_EEENS5_IJSU_SV_SW_SY_SX_SZ_S11_S10_EEENS5_IJS1M_SX_SY_S1N_S11_S12_NST_IJLi9ELi10EEEENST_IJLi11EEEEEEENST_IJLi8ELi9ELi10ELi11EEEElEENS5_IJNSB_INS5_IJSK_SP_SP_NSQ_INS5_IJiS2B_NS27_IiLi64EEEEEELb0EEES2W_EEENS5_IJSU_SV_SW_SX_SY_EEENS5_IJS1M_SX_SY_NST_IJLi5ELi6ELi7EEEENST_IJLi8ELi9ELi10EEEEEEENST_IJLi5ELi6ELi7ELi8ELi9ELi10EEEElEEEEES33_NS_31BlockToCTileMap_M00_N00_M01_N01ILi128ELi128ES1V_Lb0EEENS1_30ComputePtrOffsetOfStridedBatchILi1ELi1ELi1EvEELb0ELb1EEEvPKT0_S3B_T1_PT2_T3_T4_T5_iT6_T7_T8_T9_T10_T11_.numbered_sgpr, 78
	.set _ZN2ck16tensor_operation6device12_GLOBAL__N_137kernel_grouped_conv_fwd_dl_multiple_dINS_32GridwiseGemmDlMultipleD_km_kn_mnILi256EDF16_fNS_5TupleIJDF16_EEEDF16_NS0_12element_wise11PassThroughES8_NS7_7AddReluELNS_25InMemoryDataOperationEnumE0ENS_16TensorDescriptorINS5_IJNS_5EmbedINS5_IJiiiiEEESD_Lb0EEENS_11PassThroughIiEENS_3PadIiiiLb0EEESI_SG_SG_NSC_INS5_IJiiEEESJ_Lb0EEESK_SG_NS_23Merge_v2_magic_divisionINS5_IJiiiEEEEESN_NS_8RightPadIiiLb0EEESP_NS_7UnMergeISJ_Lb0EEESG_EEENS5_IJNS_8SequenceIJLi0EEEENST_IJLi1EEEENST_IJLi2EEEENST_IJLi3EEEENST_IJLi4EEEENST_IJLi5EEEENST_IJLi6EEEENST_IJLi7EEEENST_IJLi8EEEENST_IJLi9ELi11ELi13EEEENST_IJLi10ELi12ELi14EEEENST_IJLi15EEEENST_IJLi16EEEENST_IJLi18EEEENST_IJLi17EEEEEEENS5_IJNST_IJLi1ELi2ELi3ELi4EEEESZ_S10_S11_S12_NST_IJLi9EEEENST_IJLi10ELi11EEEENST_IJLi12ELi13EEEENST_IJLi14EEEES15_S16_S18_S17_NST_IJLi19ELi20EEEENST_IJLi21EEEEEEENST_IJLi19ELi21ELi20EEEElEENSB_INS5_IJSR_SP_SP_SR_SG_EEENS5_IJSU_SV_SW_SY_SX_EEENS5_IJNST_IJLi1ELi2EEEESX_SY_NST_IJLi5ELi6EEEES11_EEENST_IJLi5ELi7ELi6EEEElEENSB_INS5_IJSK_SP_SP_EEENS5_IJSU_SV_SW_EEENS5_IJS1M_SX_SY_EEENST_IJLi3ELi4EEEElEELi128ELi128ELi16ELi2ELi4ELi4ELi1ENST_IJLi8ELi2EEEES1W_NST_IJLi8ELi1ELi1ELi2EEEENST_IJLi2ELi1ELi128ELi1EEEENST_IJLi1ELi2ELi0ELi3EEEES1Z_NST_IJLi4ELi1ELi1ELi2EEEES1Z_NST_IJLi1ELi1ELi1ELi2EEEES1X_S1Y_S1Z_S1Z_S20_S1Z_S21_NST_IJLi0ELi1ELi2ELi3ELi4ELi5EEEELi5ELi4EEEDF16_NS5_IJPKDF16_EEEDF16_S8_S8_S9_NSB_INS5_IJSE_SG_SI_SI_SG_SG_SK_SK_SG_SN_SN_SP_SP_SR_SG_SG_NSQ_INS5_IJiNS_17integral_constantIiLi128EEEEEELb0EEENSF_INS27_IiLi2EEEEEEEENS5_IJSU_SV_SW_SX_SY_SZ_S10_S11_S12_S13_S14_S15_S16_S17_S18_NST_IJLi19EEEES1G_NST_IJLi20EEEEEEENS5_IJS1A_SZ_S10_S11_S12_S1B_S1C_S1D_S1E_S15_S16_S18_S17_S1F_S1G_NST_IJLi22EEEENST_IJLi23ELi24EEEENST_IJLi25EEEEEEENST_IJLi22ELi23ELi24ELi25EEEElEENSB_INS5_IJSR_SP_SP_SR_SG_SG_S2A_S2C_EEENS5_IJSU_SV_SW_SY_SX_SZ_S11_S10_EEENS5_IJS1M_SX_SY_S1N_S11_S12_NST_IJLi9ELi10EEEENST_IJLi11EEEEEEENST_IJLi8ELi9ELi10ELi11EEEElEENS5_IJNSB_INS5_IJSK_SP_SP_NSQ_INS5_IJiS2B_NS27_IiLi64EEEEEELb0EEES2W_EEENS5_IJSU_SV_SW_SX_SY_EEENS5_IJS1M_SX_SY_NST_IJLi5ELi6ELi7EEEENST_IJLi8ELi9ELi10EEEEEEENST_IJLi5ELi6ELi7ELi8ELi9ELi10EEEElEEEEES33_NS_31BlockToCTileMap_M00_N00_M01_N01ILi128ELi128ES1V_Lb0EEENS1_30ComputePtrOffsetOfStridedBatchILi1ELi1ELi1EvEELb0ELb1EEEvPKT0_S3B_T1_PT2_T3_T4_T5_iT6_T7_T8_T9_T10_T11_.num_named_barrier, 0
	.set _ZN2ck16tensor_operation6device12_GLOBAL__N_137kernel_grouped_conv_fwd_dl_multiple_dINS_32GridwiseGemmDlMultipleD_km_kn_mnILi256EDF16_fNS_5TupleIJDF16_EEEDF16_NS0_12element_wise11PassThroughES8_NS7_7AddReluELNS_25InMemoryDataOperationEnumE0ENS_16TensorDescriptorINS5_IJNS_5EmbedINS5_IJiiiiEEESD_Lb0EEENS_11PassThroughIiEENS_3PadIiiiLb0EEESI_SG_SG_NSC_INS5_IJiiEEESJ_Lb0EEESK_SG_NS_23Merge_v2_magic_divisionINS5_IJiiiEEEEESN_NS_8RightPadIiiLb0EEESP_NS_7UnMergeISJ_Lb0EEESG_EEENS5_IJNS_8SequenceIJLi0EEEENST_IJLi1EEEENST_IJLi2EEEENST_IJLi3EEEENST_IJLi4EEEENST_IJLi5EEEENST_IJLi6EEEENST_IJLi7EEEENST_IJLi8EEEENST_IJLi9ELi11ELi13EEEENST_IJLi10ELi12ELi14EEEENST_IJLi15EEEENST_IJLi16EEEENST_IJLi18EEEENST_IJLi17EEEEEEENS5_IJNST_IJLi1ELi2ELi3ELi4EEEESZ_S10_S11_S12_NST_IJLi9EEEENST_IJLi10ELi11EEEENST_IJLi12ELi13EEEENST_IJLi14EEEES15_S16_S18_S17_NST_IJLi19ELi20EEEENST_IJLi21EEEEEEENST_IJLi19ELi21ELi20EEEElEENSB_INS5_IJSR_SP_SP_SR_SG_EEENS5_IJSU_SV_SW_SY_SX_EEENS5_IJNST_IJLi1ELi2EEEESX_SY_NST_IJLi5ELi6EEEES11_EEENST_IJLi5ELi7ELi6EEEElEENSB_INS5_IJSK_SP_SP_EEENS5_IJSU_SV_SW_EEENS5_IJS1M_SX_SY_EEENST_IJLi3ELi4EEEElEELi128ELi128ELi16ELi2ELi4ELi4ELi1ENST_IJLi8ELi2EEEES1W_NST_IJLi8ELi1ELi1ELi2EEEENST_IJLi2ELi1ELi128ELi1EEEENST_IJLi1ELi2ELi0ELi3EEEES1Z_NST_IJLi4ELi1ELi1ELi2EEEES1Z_NST_IJLi1ELi1ELi1ELi2EEEES1X_S1Y_S1Z_S1Z_S20_S1Z_S21_NST_IJLi0ELi1ELi2ELi3ELi4ELi5EEEELi5ELi4EEEDF16_NS5_IJPKDF16_EEEDF16_S8_S8_S9_NSB_INS5_IJSE_SG_SI_SI_SG_SG_SK_SK_SG_SN_SN_SP_SP_SR_SG_SG_NSQ_INS5_IJiNS_17integral_constantIiLi128EEEEEELb0EEENSF_INS27_IiLi2EEEEEEEENS5_IJSU_SV_SW_SX_SY_SZ_S10_S11_S12_S13_S14_S15_S16_S17_S18_NST_IJLi19EEEES1G_NST_IJLi20EEEEEEENS5_IJS1A_SZ_S10_S11_S12_S1B_S1C_S1D_S1E_S15_S16_S18_S17_S1F_S1G_NST_IJLi22EEEENST_IJLi23ELi24EEEENST_IJLi25EEEEEEENST_IJLi22ELi23ELi24ELi25EEEElEENSB_INS5_IJSR_SP_SP_SR_SG_SG_S2A_S2C_EEENS5_IJSU_SV_SW_SY_SX_SZ_S11_S10_EEENS5_IJS1M_SX_SY_S1N_S11_S12_NST_IJLi9ELi10EEEENST_IJLi11EEEEEEENST_IJLi8ELi9ELi10ELi11EEEElEENS5_IJNSB_INS5_IJSK_SP_SP_NSQ_INS5_IJiS2B_NS27_IiLi64EEEEEELb0EEES2W_EEENS5_IJSU_SV_SW_SX_SY_EEENS5_IJS1M_SX_SY_NST_IJLi5ELi6ELi7EEEENST_IJLi8ELi9ELi10EEEEEEENST_IJLi5ELi6ELi7ELi8ELi9ELi10EEEElEEEEES33_NS_31BlockToCTileMap_M00_N00_M01_N01ILi128ELi128ES1V_Lb0EEENS1_30ComputePtrOffsetOfStridedBatchILi1ELi1ELi1EvEELb0ELb1EEEvPKT0_S3B_T1_PT2_T3_T4_T5_iT6_T7_T8_T9_T10_T11_.private_seg_size, 0
	.set _ZN2ck16tensor_operation6device12_GLOBAL__N_137kernel_grouped_conv_fwd_dl_multiple_dINS_32GridwiseGemmDlMultipleD_km_kn_mnILi256EDF16_fNS_5TupleIJDF16_EEEDF16_NS0_12element_wise11PassThroughES8_NS7_7AddReluELNS_25InMemoryDataOperationEnumE0ENS_16TensorDescriptorINS5_IJNS_5EmbedINS5_IJiiiiEEESD_Lb0EEENS_11PassThroughIiEENS_3PadIiiiLb0EEESI_SG_SG_NSC_INS5_IJiiEEESJ_Lb0EEESK_SG_NS_23Merge_v2_magic_divisionINS5_IJiiiEEEEESN_NS_8RightPadIiiLb0EEESP_NS_7UnMergeISJ_Lb0EEESG_EEENS5_IJNS_8SequenceIJLi0EEEENST_IJLi1EEEENST_IJLi2EEEENST_IJLi3EEEENST_IJLi4EEEENST_IJLi5EEEENST_IJLi6EEEENST_IJLi7EEEENST_IJLi8EEEENST_IJLi9ELi11ELi13EEEENST_IJLi10ELi12ELi14EEEENST_IJLi15EEEENST_IJLi16EEEENST_IJLi18EEEENST_IJLi17EEEEEEENS5_IJNST_IJLi1ELi2ELi3ELi4EEEESZ_S10_S11_S12_NST_IJLi9EEEENST_IJLi10ELi11EEEENST_IJLi12ELi13EEEENST_IJLi14EEEES15_S16_S18_S17_NST_IJLi19ELi20EEEENST_IJLi21EEEEEEENST_IJLi19ELi21ELi20EEEElEENSB_INS5_IJSR_SP_SP_SR_SG_EEENS5_IJSU_SV_SW_SY_SX_EEENS5_IJNST_IJLi1ELi2EEEESX_SY_NST_IJLi5ELi6EEEES11_EEENST_IJLi5ELi7ELi6EEEElEENSB_INS5_IJSK_SP_SP_EEENS5_IJSU_SV_SW_EEENS5_IJS1M_SX_SY_EEENST_IJLi3ELi4EEEElEELi128ELi128ELi16ELi2ELi4ELi4ELi1ENST_IJLi8ELi2EEEES1W_NST_IJLi8ELi1ELi1ELi2EEEENST_IJLi2ELi1ELi128ELi1EEEENST_IJLi1ELi2ELi0ELi3EEEES1Z_NST_IJLi4ELi1ELi1ELi2EEEES1Z_NST_IJLi1ELi1ELi1ELi2EEEES1X_S1Y_S1Z_S1Z_S20_S1Z_S21_NST_IJLi0ELi1ELi2ELi3ELi4ELi5EEEELi5ELi4EEEDF16_NS5_IJPKDF16_EEEDF16_S8_S8_S9_NSB_INS5_IJSE_SG_SI_SI_SG_SG_SK_SK_SG_SN_SN_SP_SP_SR_SG_SG_NSQ_INS5_IJiNS_17integral_constantIiLi128EEEEEELb0EEENSF_INS27_IiLi2EEEEEEEENS5_IJSU_SV_SW_SX_SY_SZ_S10_S11_S12_S13_S14_S15_S16_S17_S18_NST_IJLi19EEEES1G_NST_IJLi20EEEEEEENS5_IJS1A_SZ_S10_S11_S12_S1B_S1C_S1D_S1E_S15_S16_S18_S17_S1F_S1G_NST_IJLi22EEEENST_IJLi23ELi24EEEENST_IJLi25EEEEEEENST_IJLi22ELi23ELi24ELi25EEEElEENSB_INS5_IJSR_SP_SP_SR_SG_SG_S2A_S2C_EEENS5_IJSU_SV_SW_SY_SX_SZ_S11_S10_EEENS5_IJS1M_SX_SY_S1N_S11_S12_NST_IJLi9ELi10EEEENST_IJLi11EEEEEEENST_IJLi8ELi9ELi10ELi11EEEElEENS5_IJNSB_INS5_IJSK_SP_SP_NSQ_INS5_IJiS2B_NS27_IiLi64EEEEEELb0EEES2W_EEENS5_IJSU_SV_SW_SX_SY_EEENS5_IJS1M_SX_SY_NST_IJLi5ELi6ELi7EEEENST_IJLi8ELi9ELi10EEEEEEENST_IJLi5ELi6ELi7ELi8ELi9ELi10EEEElEEEEES33_NS_31BlockToCTileMap_M00_N00_M01_N01ILi128ELi128ES1V_Lb0EEENS1_30ComputePtrOffsetOfStridedBatchILi1ELi1ELi1EvEELb0ELb1EEEvPKT0_S3B_T1_PT2_T3_T4_T5_iT6_T7_T8_T9_T10_T11_.uses_vcc, 1
	.set _ZN2ck16tensor_operation6device12_GLOBAL__N_137kernel_grouped_conv_fwd_dl_multiple_dINS_32GridwiseGemmDlMultipleD_km_kn_mnILi256EDF16_fNS_5TupleIJDF16_EEEDF16_NS0_12element_wise11PassThroughES8_NS7_7AddReluELNS_25InMemoryDataOperationEnumE0ENS_16TensorDescriptorINS5_IJNS_5EmbedINS5_IJiiiiEEESD_Lb0EEENS_11PassThroughIiEENS_3PadIiiiLb0EEESI_SG_SG_NSC_INS5_IJiiEEESJ_Lb0EEESK_SG_NS_23Merge_v2_magic_divisionINS5_IJiiiEEEEESN_NS_8RightPadIiiLb0EEESP_NS_7UnMergeISJ_Lb0EEESG_EEENS5_IJNS_8SequenceIJLi0EEEENST_IJLi1EEEENST_IJLi2EEEENST_IJLi3EEEENST_IJLi4EEEENST_IJLi5EEEENST_IJLi6EEEENST_IJLi7EEEENST_IJLi8EEEENST_IJLi9ELi11ELi13EEEENST_IJLi10ELi12ELi14EEEENST_IJLi15EEEENST_IJLi16EEEENST_IJLi18EEEENST_IJLi17EEEEEEENS5_IJNST_IJLi1ELi2ELi3ELi4EEEESZ_S10_S11_S12_NST_IJLi9EEEENST_IJLi10ELi11EEEENST_IJLi12ELi13EEEENST_IJLi14EEEES15_S16_S18_S17_NST_IJLi19ELi20EEEENST_IJLi21EEEEEEENST_IJLi19ELi21ELi20EEEElEENSB_INS5_IJSR_SP_SP_SR_SG_EEENS5_IJSU_SV_SW_SY_SX_EEENS5_IJNST_IJLi1ELi2EEEESX_SY_NST_IJLi5ELi6EEEES11_EEENST_IJLi5ELi7ELi6EEEElEENSB_INS5_IJSK_SP_SP_EEENS5_IJSU_SV_SW_EEENS5_IJS1M_SX_SY_EEENST_IJLi3ELi4EEEElEELi128ELi128ELi16ELi2ELi4ELi4ELi1ENST_IJLi8ELi2EEEES1W_NST_IJLi8ELi1ELi1ELi2EEEENST_IJLi2ELi1ELi128ELi1EEEENST_IJLi1ELi2ELi0ELi3EEEES1Z_NST_IJLi4ELi1ELi1ELi2EEEES1Z_NST_IJLi1ELi1ELi1ELi2EEEES1X_S1Y_S1Z_S1Z_S20_S1Z_S21_NST_IJLi0ELi1ELi2ELi3ELi4ELi5EEEELi5ELi4EEEDF16_NS5_IJPKDF16_EEEDF16_S8_S8_S9_NSB_INS5_IJSE_SG_SI_SI_SG_SG_SK_SK_SG_SN_SN_SP_SP_SR_SG_SG_NSQ_INS5_IJiNS_17integral_constantIiLi128EEEEEELb0EEENSF_INS27_IiLi2EEEEEEEENS5_IJSU_SV_SW_SX_SY_SZ_S10_S11_S12_S13_S14_S15_S16_S17_S18_NST_IJLi19EEEES1G_NST_IJLi20EEEEEEENS5_IJS1A_SZ_S10_S11_S12_S1B_S1C_S1D_S1E_S15_S16_S18_S17_S1F_S1G_NST_IJLi22EEEENST_IJLi23ELi24EEEENST_IJLi25EEEEEEENST_IJLi22ELi23ELi24ELi25EEEElEENSB_INS5_IJSR_SP_SP_SR_SG_SG_S2A_S2C_EEENS5_IJSU_SV_SW_SY_SX_SZ_S11_S10_EEENS5_IJS1M_SX_SY_S1N_S11_S12_NST_IJLi9ELi10EEEENST_IJLi11EEEEEEENST_IJLi8ELi9ELi10ELi11EEEElEENS5_IJNSB_INS5_IJSK_SP_SP_NSQ_INS5_IJiS2B_NS27_IiLi64EEEEEELb0EEES2W_EEENS5_IJSU_SV_SW_SX_SY_EEENS5_IJS1M_SX_SY_NST_IJLi5ELi6ELi7EEEENST_IJLi8ELi9ELi10EEEEEEENST_IJLi5ELi6ELi7ELi8ELi9ELi10EEEElEEEEES33_NS_31BlockToCTileMap_M00_N00_M01_N01ILi128ELi128ES1V_Lb0EEENS1_30ComputePtrOffsetOfStridedBatchILi1ELi1ELi1EvEELb0ELb1EEEvPKT0_S3B_T1_PT2_T3_T4_T5_iT6_T7_T8_T9_T10_T11_.uses_flat_scratch, 0
	.set _ZN2ck16tensor_operation6device12_GLOBAL__N_137kernel_grouped_conv_fwd_dl_multiple_dINS_32GridwiseGemmDlMultipleD_km_kn_mnILi256EDF16_fNS_5TupleIJDF16_EEEDF16_NS0_12element_wise11PassThroughES8_NS7_7AddReluELNS_25InMemoryDataOperationEnumE0ENS_16TensorDescriptorINS5_IJNS_5EmbedINS5_IJiiiiEEESD_Lb0EEENS_11PassThroughIiEENS_3PadIiiiLb0EEESI_SG_SG_NSC_INS5_IJiiEEESJ_Lb0EEESK_SG_NS_23Merge_v2_magic_divisionINS5_IJiiiEEEEESN_NS_8RightPadIiiLb0EEESP_NS_7UnMergeISJ_Lb0EEESG_EEENS5_IJNS_8SequenceIJLi0EEEENST_IJLi1EEEENST_IJLi2EEEENST_IJLi3EEEENST_IJLi4EEEENST_IJLi5EEEENST_IJLi6EEEENST_IJLi7EEEENST_IJLi8EEEENST_IJLi9ELi11ELi13EEEENST_IJLi10ELi12ELi14EEEENST_IJLi15EEEENST_IJLi16EEEENST_IJLi18EEEENST_IJLi17EEEEEEENS5_IJNST_IJLi1ELi2ELi3ELi4EEEESZ_S10_S11_S12_NST_IJLi9EEEENST_IJLi10ELi11EEEENST_IJLi12ELi13EEEENST_IJLi14EEEES15_S16_S18_S17_NST_IJLi19ELi20EEEENST_IJLi21EEEEEEENST_IJLi19ELi21ELi20EEEElEENSB_INS5_IJSR_SP_SP_SR_SG_EEENS5_IJSU_SV_SW_SY_SX_EEENS5_IJNST_IJLi1ELi2EEEESX_SY_NST_IJLi5ELi6EEEES11_EEENST_IJLi5ELi7ELi6EEEElEENSB_INS5_IJSK_SP_SP_EEENS5_IJSU_SV_SW_EEENS5_IJS1M_SX_SY_EEENST_IJLi3ELi4EEEElEELi128ELi128ELi16ELi2ELi4ELi4ELi1ENST_IJLi8ELi2EEEES1W_NST_IJLi8ELi1ELi1ELi2EEEENST_IJLi2ELi1ELi128ELi1EEEENST_IJLi1ELi2ELi0ELi3EEEES1Z_NST_IJLi4ELi1ELi1ELi2EEEES1Z_NST_IJLi1ELi1ELi1ELi2EEEES1X_S1Y_S1Z_S1Z_S20_S1Z_S21_NST_IJLi0ELi1ELi2ELi3ELi4ELi5EEEELi5ELi4EEEDF16_NS5_IJPKDF16_EEEDF16_S8_S8_S9_NSB_INS5_IJSE_SG_SI_SI_SG_SG_SK_SK_SG_SN_SN_SP_SP_SR_SG_SG_NSQ_INS5_IJiNS_17integral_constantIiLi128EEEEEELb0EEENSF_INS27_IiLi2EEEEEEEENS5_IJSU_SV_SW_SX_SY_SZ_S10_S11_S12_S13_S14_S15_S16_S17_S18_NST_IJLi19EEEES1G_NST_IJLi20EEEEEEENS5_IJS1A_SZ_S10_S11_S12_S1B_S1C_S1D_S1E_S15_S16_S18_S17_S1F_S1G_NST_IJLi22EEEENST_IJLi23ELi24EEEENST_IJLi25EEEEEEENST_IJLi22ELi23ELi24ELi25EEEElEENSB_INS5_IJSR_SP_SP_SR_SG_SG_S2A_S2C_EEENS5_IJSU_SV_SW_SY_SX_SZ_S11_S10_EEENS5_IJS1M_SX_SY_S1N_S11_S12_NST_IJLi9ELi10EEEENST_IJLi11EEEEEEENST_IJLi8ELi9ELi10ELi11EEEElEENS5_IJNSB_INS5_IJSK_SP_SP_NSQ_INS5_IJiS2B_NS27_IiLi64EEEEEELb0EEES2W_EEENS5_IJSU_SV_SW_SX_SY_EEENS5_IJS1M_SX_SY_NST_IJLi5ELi6ELi7EEEENST_IJLi8ELi9ELi10EEEEEEENST_IJLi5ELi6ELi7ELi8ELi9ELi10EEEElEEEEES33_NS_31BlockToCTileMap_M00_N00_M01_N01ILi128ELi128ES1V_Lb0EEENS1_30ComputePtrOffsetOfStridedBatchILi1ELi1ELi1EvEELb0ELb1EEEvPKT0_S3B_T1_PT2_T3_T4_T5_iT6_T7_T8_T9_T10_T11_.has_dyn_sized_stack, 0
	.set _ZN2ck16tensor_operation6device12_GLOBAL__N_137kernel_grouped_conv_fwd_dl_multiple_dINS_32GridwiseGemmDlMultipleD_km_kn_mnILi256EDF16_fNS_5TupleIJDF16_EEEDF16_NS0_12element_wise11PassThroughES8_NS7_7AddReluELNS_25InMemoryDataOperationEnumE0ENS_16TensorDescriptorINS5_IJNS_5EmbedINS5_IJiiiiEEESD_Lb0EEENS_11PassThroughIiEENS_3PadIiiiLb0EEESI_SG_SG_NSC_INS5_IJiiEEESJ_Lb0EEESK_SG_NS_23Merge_v2_magic_divisionINS5_IJiiiEEEEESN_NS_8RightPadIiiLb0EEESP_NS_7UnMergeISJ_Lb0EEESG_EEENS5_IJNS_8SequenceIJLi0EEEENST_IJLi1EEEENST_IJLi2EEEENST_IJLi3EEEENST_IJLi4EEEENST_IJLi5EEEENST_IJLi6EEEENST_IJLi7EEEENST_IJLi8EEEENST_IJLi9ELi11ELi13EEEENST_IJLi10ELi12ELi14EEEENST_IJLi15EEEENST_IJLi16EEEENST_IJLi18EEEENST_IJLi17EEEEEEENS5_IJNST_IJLi1ELi2ELi3ELi4EEEESZ_S10_S11_S12_NST_IJLi9EEEENST_IJLi10ELi11EEEENST_IJLi12ELi13EEEENST_IJLi14EEEES15_S16_S18_S17_NST_IJLi19ELi20EEEENST_IJLi21EEEEEEENST_IJLi19ELi21ELi20EEEElEENSB_INS5_IJSR_SP_SP_SR_SG_EEENS5_IJSU_SV_SW_SY_SX_EEENS5_IJNST_IJLi1ELi2EEEESX_SY_NST_IJLi5ELi6EEEES11_EEENST_IJLi5ELi7ELi6EEEElEENSB_INS5_IJSK_SP_SP_EEENS5_IJSU_SV_SW_EEENS5_IJS1M_SX_SY_EEENST_IJLi3ELi4EEEElEELi128ELi128ELi16ELi2ELi4ELi4ELi1ENST_IJLi8ELi2EEEES1W_NST_IJLi8ELi1ELi1ELi2EEEENST_IJLi2ELi1ELi128ELi1EEEENST_IJLi1ELi2ELi0ELi3EEEES1Z_NST_IJLi4ELi1ELi1ELi2EEEES1Z_NST_IJLi1ELi1ELi1ELi2EEEES1X_S1Y_S1Z_S1Z_S20_S1Z_S21_NST_IJLi0ELi1ELi2ELi3ELi4ELi5EEEELi5ELi4EEEDF16_NS5_IJPKDF16_EEEDF16_S8_S8_S9_NSB_INS5_IJSE_SG_SI_SI_SG_SG_SK_SK_SG_SN_SN_SP_SP_SR_SG_SG_NSQ_INS5_IJiNS_17integral_constantIiLi128EEEEEELb0EEENSF_INS27_IiLi2EEEEEEEENS5_IJSU_SV_SW_SX_SY_SZ_S10_S11_S12_S13_S14_S15_S16_S17_S18_NST_IJLi19EEEES1G_NST_IJLi20EEEEEEENS5_IJS1A_SZ_S10_S11_S12_S1B_S1C_S1D_S1E_S15_S16_S18_S17_S1F_S1G_NST_IJLi22EEEENST_IJLi23ELi24EEEENST_IJLi25EEEEEEENST_IJLi22ELi23ELi24ELi25EEEElEENSB_INS5_IJSR_SP_SP_SR_SG_SG_S2A_S2C_EEENS5_IJSU_SV_SW_SY_SX_SZ_S11_S10_EEENS5_IJS1M_SX_SY_S1N_S11_S12_NST_IJLi9ELi10EEEENST_IJLi11EEEEEEENST_IJLi8ELi9ELi10ELi11EEEElEENS5_IJNSB_INS5_IJSK_SP_SP_NSQ_INS5_IJiS2B_NS27_IiLi64EEEEEELb0EEES2W_EEENS5_IJSU_SV_SW_SX_SY_EEENS5_IJS1M_SX_SY_NST_IJLi5ELi6ELi7EEEENST_IJLi8ELi9ELi10EEEEEEENST_IJLi5ELi6ELi7ELi8ELi9ELi10EEEElEEEEES33_NS_31BlockToCTileMap_M00_N00_M01_N01ILi128ELi128ES1V_Lb0EEENS1_30ComputePtrOffsetOfStridedBatchILi1ELi1ELi1EvEELb0ELb1EEEvPKT0_S3B_T1_PT2_T3_T4_T5_iT6_T7_T8_T9_T10_T11_.has_recursion, 0
	.set _ZN2ck16tensor_operation6device12_GLOBAL__N_137kernel_grouped_conv_fwd_dl_multiple_dINS_32GridwiseGemmDlMultipleD_km_kn_mnILi256EDF16_fNS_5TupleIJDF16_EEEDF16_NS0_12element_wise11PassThroughES8_NS7_7AddReluELNS_25InMemoryDataOperationEnumE0ENS_16TensorDescriptorINS5_IJNS_5EmbedINS5_IJiiiiEEESD_Lb0EEENS_11PassThroughIiEENS_3PadIiiiLb0EEESI_SG_SG_NSC_INS5_IJiiEEESJ_Lb0EEESK_SG_NS_23Merge_v2_magic_divisionINS5_IJiiiEEEEESN_NS_8RightPadIiiLb0EEESP_NS_7UnMergeISJ_Lb0EEESG_EEENS5_IJNS_8SequenceIJLi0EEEENST_IJLi1EEEENST_IJLi2EEEENST_IJLi3EEEENST_IJLi4EEEENST_IJLi5EEEENST_IJLi6EEEENST_IJLi7EEEENST_IJLi8EEEENST_IJLi9ELi11ELi13EEEENST_IJLi10ELi12ELi14EEEENST_IJLi15EEEENST_IJLi16EEEENST_IJLi18EEEENST_IJLi17EEEEEEENS5_IJNST_IJLi1ELi2ELi3ELi4EEEESZ_S10_S11_S12_NST_IJLi9EEEENST_IJLi10ELi11EEEENST_IJLi12ELi13EEEENST_IJLi14EEEES15_S16_S18_S17_NST_IJLi19ELi20EEEENST_IJLi21EEEEEEENST_IJLi19ELi21ELi20EEEElEENSB_INS5_IJSR_SP_SP_SR_SG_EEENS5_IJSU_SV_SW_SY_SX_EEENS5_IJNST_IJLi1ELi2EEEESX_SY_NST_IJLi5ELi6EEEES11_EEENST_IJLi5ELi7ELi6EEEElEENSB_INS5_IJSK_SP_SP_EEENS5_IJSU_SV_SW_EEENS5_IJS1M_SX_SY_EEENST_IJLi3ELi4EEEElEELi128ELi128ELi16ELi2ELi4ELi4ELi1ENST_IJLi8ELi2EEEES1W_NST_IJLi8ELi1ELi1ELi2EEEENST_IJLi2ELi1ELi128ELi1EEEENST_IJLi1ELi2ELi0ELi3EEEES1Z_NST_IJLi4ELi1ELi1ELi2EEEES1Z_NST_IJLi1ELi1ELi1ELi2EEEES1X_S1Y_S1Z_S1Z_S20_S1Z_S21_NST_IJLi0ELi1ELi2ELi3ELi4ELi5EEEELi5ELi4EEEDF16_NS5_IJPKDF16_EEEDF16_S8_S8_S9_NSB_INS5_IJSE_SG_SI_SI_SG_SG_SK_SK_SG_SN_SN_SP_SP_SR_SG_SG_NSQ_INS5_IJiNS_17integral_constantIiLi128EEEEEELb0EEENSF_INS27_IiLi2EEEEEEEENS5_IJSU_SV_SW_SX_SY_SZ_S10_S11_S12_S13_S14_S15_S16_S17_S18_NST_IJLi19EEEES1G_NST_IJLi20EEEEEEENS5_IJS1A_SZ_S10_S11_S12_S1B_S1C_S1D_S1E_S15_S16_S18_S17_S1F_S1G_NST_IJLi22EEEENST_IJLi23ELi24EEEENST_IJLi25EEEEEEENST_IJLi22ELi23ELi24ELi25EEEElEENSB_INS5_IJSR_SP_SP_SR_SG_SG_S2A_S2C_EEENS5_IJSU_SV_SW_SY_SX_SZ_S11_S10_EEENS5_IJS1M_SX_SY_S1N_S11_S12_NST_IJLi9ELi10EEEENST_IJLi11EEEEEEENST_IJLi8ELi9ELi10ELi11EEEElEENS5_IJNSB_INS5_IJSK_SP_SP_NSQ_INS5_IJiS2B_NS27_IiLi64EEEEEELb0EEES2W_EEENS5_IJSU_SV_SW_SX_SY_EEENS5_IJS1M_SX_SY_NST_IJLi5ELi6ELi7EEEENST_IJLi8ELi9ELi10EEEEEEENST_IJLi5ELi6ELi7ELi8ELi9ELi10EEEElEEEEES33_NS_31BlockToCTileMap_M00_N00_M01_N01ILi128ELi128ES1V_Lb0EEENS1_30ComputePtrOffsetOfStridedBatchILi1ELi1ELi1EvEELb0ELb1EEEvPKT0_S3B_T1_PT2_T3_T4_T5_iT6_T7_T8_T9_T10_T11_.has_indirect_call, 0
	.section	.AMDGPU.csdata,"",@progbits
; Kernel info:
; codeLenInByte = 22972
; TotalNumSgprs: 82
; NumVgprs: 125
; ScratchSize: 0
; MemoryBound: 0
; FloatMode: 240
; IeeeMode: 1
; LDSByteSize: 32768 bytes/workgroup (compile time only)
; SGPRBlocks: 12
; VGPRBlocks: 31
; NumSGPRsForWavesPerEU: 102
; NumVGPRsForWavesPerEU: 125
; Occupancy: 2
; WaveLimiterHint : 0
; COMPUTE_PGM_RSRC2:SCRATCH_EN: 0
; COMPUTE_PGM_RSRC2:USER_SGPR: 6
; COMPUTE_PGM_RSRC2:TRAP_HANDLER: 0
; COMPUTE_PGM_RSRC2:TGID_X_EN: 1
; COMPUTE_PGM_RSRC2:TGID_Y_EN: 0
; COMPUTE_PGM_RSRC2:TGID_Z_EN: 0
; COMPUTE_PGM_RSRC2:TIDIG_COMP_CNT: 0
	.section	.text._ZN2ck16tensor_operation6device12_GLOBAL__N_137kernel_grouped_conv_fwd_dl_multiple_dINS_32GridwiseGemmDlMultipleD_km_kn_mnILi256EDF16_fNS_5TupleIJDF16_EEEDF16_NS0_12element_wise11PassThroughES8_NS7_7AddReluELNS_25InMemoryDataOperationEnumE0ENS_16TensorDescriptorINS5_IJNS_5EmbedINS5_IJiiiiEEESD_Lb0EEENS_11PassThroughIiEENS_3PadIiiiLb0EEESI_SG_SG_NSC_INS5_IJiiEEESJ_Lb0EEESK_SG_NS_23Merge_v2_magic_divisionINS5_IJiiiEEEEESN_NS_8RightPadIiiLb0EEESP_NS_7UnMergeISJ_Lb0EEESG_EEENS5_IJNS_8SequenceIJLi0EEEENST_IJLi1EEEENST_IJLi2EEEENST_IJLi3EEEENST_IJLi4EEEENST_IJLi5EEEENST_IJLi6EEEENST_IJLi7EEEENST_IJLi8EEEENST_IJLi9ELi11ELi13EEEENST_IJLi10ELi12ELi14EEEENST_IJLi15EEEENST_IJLi16EEEENST_IJLi18EEEENST_IJLi17EEEEEEENS5_IJNST_IJLi1ELi2ELi3ELi4EEEESZ_S10_S11_S12_NST_IJLi9EEEENST_IJLi10ELi11EEEENST_IJLi12ELi13EEEENST_IJLi14EEEES15_S16_S18_S17_NST_IJLi19ELi20EEEENST_IJLi21EEEEEEENST_IJLi19ELi21ELi20EEEElEENSB_INS5_IJSR_SP_SP_SR_SG_EEENS5_IJSU_SV_SW_SY_SX_EEENS5_IJNST_IJLi1ELi2EEEESX_SY_NST_IJLi5ELi6EEEES11_EEENST_IJLi5ELi7ELi6EEEElEENSB_INS5_IJSK_SP_SP_EEENS5_IJSU_SV_SW_EEENS5_IJS1M_SX_SY_EEENST_IJLi3ELi4EEEElEELi128ELi128ELi16ELi2ELi4ELi4ELi1ENST_IJLi8ELi2EEEES1W_NST_IJLi8ELi1ELi1ELi2EEEENST_IJLi2ELi1ELi128ELi1EEEENST_IJLi1ELi2ELi0ELi3EEEES1Z_NST_IJLi4ELi1ELi1ELi2EEEES1Z_NST_IJLi1ELi1ELi1ELi2EEEES1X_S1Y_S1Z_S1Z_S20_S1Z_S21_NST_IJLi0ELi1ELi2ELi3ELi4ELi5EEEELi5ELi4EEEDF16_NS5_IJPKDF16_EEEDF16_S8_S8_S9_NSB_INS5_IJSE_SG_SI_SI_SG_SG_SK_SK_SG_SN_SN_SP_SP_SR_SG_SG_NSQ_INS5_IJiNS_17integral_constantIiLi128EEEEEELb0EEENSF_INS27_IiLi2EEEEEEEENS5_IJSU_SV_SW_SX_SY_SZ_S10_S11_S12_S13_S14_S15_S16_S17_S18_NST_IJLi19EEEES1G_NST_IJLi20EEEEEEENS5_IJS1A_SZ_S10_S11_S12_S1B_S1C_S1D_S1E_S15_S16_S18_S17_S1F_S1G_NST_IJLi22EEEENST_IJLi23ELi24EEEENST_IJLi25EEEEEEENST_IJLi22ELi23ELi24ELi25EEEElEENSB_INS5_IJSR_SP_SP_SR_SG_SG_S2A_S2C_EEENS5_IJSU_SV_SW_SY_SX_SZ_S11_S10_EEENS5_IJS1M_SX_SY_S1N_S11_S12_NST_IJLi9ELi10EEEENST_IJLi11EEEEEEENST_IJLi8ELi9ELi10ELi11EEEElEENS5_IJNSB_INS5_IJSK_SP_SP_NSQ_INS5_IJiS2B_NS27_IiLi64EEEEEELb0EEES2W_EEENS5_IJSU_SV_SW_SX_SY_EEENS5_IJS1M_SX_SY_NST_IJLi5ELi6ELi7EEEENST_IJLi8ELi9ELi10EEEEEEENST_IJLi5ELi6ELi7ELi8ELi9ELi10EEEElEEEEES33_NS_31BlockToCTileMap_M00_N00_M01_N01ILi128ELi128ES1V_Lb0EEENS1_30ComputePtrOffsetOfStridedBatchILi1ELi1ELi1EvEELb0ELb0EEEvPKT0_S3B_T1_PT2_T3_T4_T5_iT6_T7_T8_T9_T10_T11_,"axG",@progbits,_ZN2ck16tensor_operation6device12_GLOBAL__N_137kernel_grouped_conv_fwd_dl_multiple_dINS_32GridwiseGemmDlMultipleD_km_kn_mnILi256EDF16_fNS_5TupleIJDF16_EEEDF16_NS0_12element_wise11PassThroughES8_NS7_7AddReluELNS_25InMemoryDataOperationEnumE0ENS_16TensorDescriptorINS5_IJNS_5EmbedINS5_IJiiiiEEESD_Lb0EEENS_11PassThroughIiEENS_3PadIiiiLb0EEESI_SG_SG_NSC_INS5_IJiiEEESJ_Lb0EEESK_SG_NS_23Merge_v2_magic_divisionINS5_IJiiiEEEEESN_NS_8RightPadIiiLb0EEESP_NS_7UnMergeISJ_Lb0EEESG_EEENS5_IJNS_8SequenceIJLi0EEEENST_IJLi1EEEENST_IJLi2EEEENST_IJLi3EEEENST_IJLi4EEEENST_IJLi5EEEENST_IJLi6EEEENST_IJLi7EEEENST_IJLi8EEEENST_IJLi9ELi11ELi13EEEENST_IJLi10ELi12ELi14EEEENST_IJLi15EEEENST_IJLi16EEEENST_IJLi18EEEENST_IJLi17EEEEEEENS5_IJNST_IJLi1ELi2ELi3ELi4EEEESZ_S10_S11_S12_NST_IJLi9EEEENST_IJLi10ELi11EEEENST_IJLi12ELi13EEEENST_IJLi14EEEES15_S16_S18_S17_NST_IJLi19ELi20EEEENST_IJLi21EEEEEEENST_IJLi19ELi21ELi20EEEElEENSB_INS5_IJSR_SP_SP_SR_SG_EEENS5_IJSU_SV_SW_SY_SX_EEENS5_IJNST_IJLi1ELi2EEEESX_SY_NST_IJLi5ELi6EEEES11_EEENST_IJLi5ELi7ELi6EEEElEENSB_INS5_IJSK_SP_SP_EEENS5_IJSU_SV_SW_EEENS5_IJS1M_SX_SY_EEENST_IJLi3ELi4EEEElEELi128ELi128ELi16ELi2ELi4ELi4ELi1ENST_IJLi8ELi2EEEES1W_NST_IJLi8ELi1ELi1ELi2EEEENST_IJLi2ELi1ELi128ELi1EEEENST_IJLi1ELi2ELi0ELi3EEEES1Z_NST_IJLi4ELi1ELi1ELi2EEEES1Z_NST_IJLi1ELi1ELi1ELi2EEEES1X_S1Y_S1Z_S1Z_S20_S1Z_S21_NST_IJLi0ELi1ELi2ELi3ELi4ELi5EEEELi5ELi4EEEDF16_NS5_IJPKDF16_EEEDF16_S8_S8_S9_NSB_INS5_IJSE_SG_SI_SI_SG_SG_SK_SK_SG_SN_SN_SP_SP_SR_SG_SG_NSQ_INS5_IJiNS_17integral_constantIiLi128EEEEEELb0EEENSF_INS27_IiLi2EEEEEEEENS5_IJSU_SV_SW_SX_SY_SZ_S10_S11_S12_S13_S14_S15_S16_S17_S18_NST_IJLi19EEEES1G_NST_IJLi20EEEEEEENS5_IJS1A_SZ_S10_S11_S12_S1B_S1C_S1D_S1E_S15_S16_S18_S17_S1F_S1G_NST_IJLi22EEEENST_IJLi23ELi24EEEENST_IJLi25EEEEEEENST_IJLi22ELi23ELi24ELi25EEEElEENSB_INS5_IJSR_SP_SP_SR_SG_SG_S2A_S2C_EEENS5_IJSU_SV_SW_SY_SX_SZ_S11_S10_EEENS5_IJS1M_SX_SY_S1N_S11_S12_NST_IJLi9ELi10EEEENST_IJLi11EEEEEEENST_IJLi8ELi9ELi10ELi11EEEElEENS5_IJNSB_INS5_IJSK_SP_SP_NSQ_INS5_IJiS2B_NS27_IiLi64EEEEEELb0EEES2W_EEENS5_IJSU_SV_SW_SX_SY_EEENS5_IJS1M_SX_SY_NST_IJLi5ELi6ELi7EEEENST_IJLi8ELi9ELi10EEEEEEENST_IJLi5ELi6ELi7ELi8ELi9ELi10EEEElEEEEES33_NS_31BlockToCTileMap_M00_N00_M01_N01ILi128ELi128ES1V_Lb0EEENS1_30ComputePtrOffsetOfStridedBatchILi1ELi1ELi1EvEELb0ELb0EEEvPKT0_S3B_T1_PT2_T3_T4_T5_iT6_T7_T8_T9_T10_T11_,comdat
	.globl	_ZN2ck16tensor_operation6device12_GLOBAL__N_137kernel_grouped_conv_fwd_dl_multiple_dINS_32GridwiseGemmDlMultipleD_km_kn_mnILi256EDF16_fNS_5TupleIJDF16_EEEDF16_NS0_12element_wise11PassThroughES8_NS7_7AddReluELNS_25InMemoryDataOperationEnumE0ENS_16TensorDescriptorINS5_IJNS_5EmbedINS5_IJiiiiEEESD_Lb0EEENS_11PassThroughIiEENS_3PadIiiiLb0EEESI_SG_SG_NSC_INS5_IJiiEEESJ_Lb0EEESK_SG_NS_23Merge_v2_magic_divisionINS5_IJiiiEEEEESN_NS_8RightPadIiiLb0EEESP_NS_7UnMergeISJ_Lb0EEESG_EEENS5_IJNS_8SequenceIJLi0EEEENST_IJLi1EEEENST_IJLi2EEEENST_IJLi3EEEENST_IJLi4EEEENST_IJLi5EEEENST_IJLi6EEEENST_IJLi7EEEENST_IJLi8EEEENST_IJLi9ELi11ELi13EEEENST_IJLi10ELi12ELi14EEEENST_IJLi15EEEENST_IJLi16EEEENST_IJLi18EEEENST_IJLi17EEEEEEENS5_IJNST_IJLi1ELi2ELi3ELi4EEEESZ_S10_S11_S12_NST_IJLi9EEEENST_IJLi10ELi11EEEENST_IJLi12ELi13EEEENST_IJLi14EEEES15_S16_S18_S17_NST_IJLi19ELi20EEEENST_IJLi21EEEEEEENST_IJLi19ELi21ELi20EEEElEENSB_INS5_IJSR_SP_SP_SR_SG_EEENS5_IJSU_SV_SW_SY_SX_EEENS5_IJNST_IJLi1ELi2EEEESX_SY_NST_IJLi5ELi6EEEES11_EEENST_IJLi5ELi7ELi6EEEElEENSB_INS5_IJSK_SP_SP_EEENS5_IJSU_SV_SW_EEENS5_IJS1M_SX_SY_EEENST_IJLi3ELi4EEEElEELi128ELi128ELi16ELi2ELi4ELi4ELi1ENST_IJLi8ELi2EEEES1W_NST_IJLi8ELi1ELi1ELi2EEEENST_IJLi2ELi1ELi128ELi1EEEENST_IJLi1ELi2ELi0ELi3EEEES1Z_NST_IJLi4ELi1ELi1ELi2EEEES1Z_NST_IJLi1ELi1ELi1ELi2EEEES1X_S1Y_S1Z_S1Z_S20_S1Z_S21_NST_IJLi0ELi1ELi2ELi3ELi4ELi5EEEELi5ELi4EEEDF16_NS5_IJPKDF16_EEEDF16_S8_S8_S9_NSB_INS5_IJSE_SG_SI_SI_SG_SG_SK_SK_SG_SN_SN_SP_SP_SR_SG_SG_NSQ_INS5_IJiNS_17integral_constantIiLi128EEEEEELb0EEENSF_INS27_IiLi2EEEEEEEENS5_IJSU_SV_SW_SX_SY_SZ_S10_S11_S12_S13_S14_S15_S16_S17_S18_NST_IJLi19EEEES1G_NST_IJLi20EEEEEEENS5_IJS1A_SZ_S10_S11_S12_S1B_S1C_S1D_S1E_S15_S16_S18_S17_S1F_S1G_NST_IJLi22EEEENST_IJLi23ELi24EEEENST_IJLi25EEEEEEENST_IJLi22ELi23ELi24ELi25EEEElEENSB_INS5_IJSR_SP_SP_SR_SG_SG_S2A_S2C_EEENS5_IJSU_SV_SW_SY_SX_SZ_S11_S10_EEENS5_IJS1M_SX_SY_S1N_S11_S12_NST_IJLi9ELi10EEEENST_IJLi11EEEEEEENST_IJLi8ELi9ELi10ELi11EEEElEENS5_IJNSB_INS5_IJSK_SP_SP_NSQ_INS5_IJiS2B_NS27_IiLi64EEEEEELb0EEES2W_EEENS5_IJSU_SV_SW_SX_SY_EEENS5_IJS1M_SX_SY_NST_IJLi5ELi6ELi7EEEENST_IJLi8ELi9ELi10EEEEEEENST_IJLi5ELi6ELi7ELi8ELi9ELi10EEEElEEEEES33_NS_31BlockToCTileMap_M00_N00_M01_N01ILi128ELi128ES1V_Lb0EEENS1_30ComputePtrOffsetOfStridedBatchILi1ELi1ELi1EvEELb0ELb0EEEvPKT0_S3B_T1_PT2_T3_T4_T5_iT6_T7_T8_T9_T10_T11_ ; -- Begin function _ZN2ck16tensor_operation6device12_GLOBAL__N_137kernel_grouped_conv_fwd_dl_multiple_dINS_32GridwiseGemmDlMultipleD_km_kn_mnILi256EDF16_fNS_5TupleIJDF16_EEEDF16_NS0_12element_wise11PassThroughES8_NS7_7AddReluELNS_25InMemoryDataOperationEnumE0ENS_16TensorDescriptorINS5_IJNS_5EmbedINS5_IJiiiiEEESD_Lb0EEENS_11PassThroughIiEENS_3PadIiiiLb0EEESI_SG_SG_NSC_INS5_IJiiEEESJ_Lb0EEESK_SG_NS_23Merge_v2_magic_divisionINS5_IJiiiEEEEESN_NS_8RightPadIiiLb0EEESP_NS_7UnMergeISJ_Lb0EEESG_EEENS5_IJNS_8SequenceIJLi0EEEENST_IJLi1EEEENST_IJLi2EEEENST_IJLi3EEEENST_IJLi4EEEENST_IJLi5EEEENST_IJLi6EEEENST_IJLi7EEEENST_IJLi8EEEENST_IJLi9ELi11ELi13EEEENST_IJLi10ELi12ELi14EEEENST_IJLi15EEEENST_IJLi16EEEENST_IJLi18EEEENST_IJLi17EEEEEEENS5_IJNST_IJLi1ELi2ELi3ELi4EEEESZ_S10_S11_S12_NST_IJLi9EEEENST_IJLi10ELi11EEEENST_IJLi12ELi13EEEENST_IJLi14EEEES15_S16_S18_S17_NST_IJLi19ELi20EEEENST_IJLi21EEEEEEENST_IJLi19ELi21ELi20EEEElEENSB_INS5_IJSR_SP_SP_SR_SG_EEENS5_IJSU_SV_SW_SY_SX_EEENS5_IJNST_IJLi1ELi2EEEESX_SY_NST_IJLi5ELi6EEEES11_EEENST_IJLi5ELi7ELi6EEEElEENSB_INS5_IJSK_SP_SP_EEENS5_IJSU_SV_SW_EEENS5_IJS1M_SX_SY_EEENST_IJLi3ELi4EEEElEELi128ELi128ELi16ELi2ELi4ELi4ELi1ENST_IJLi8ELi2EEEES1W_NST_IJLi8ELi1ELi1ELi2EEEENST_IJLi2ELi1ELi128ELi1EEEENST_IJLi1ELi2ELi0ELi3EEEES1Z_NST_IJLi4ELi1ELi1ELi2EEEES1Z_NST_IJLi1ELi1ELi1ELi2EEEES1X_S1Y_S1Z_S1Z_S20_S1Z_S21_NST_IJLi0ELi1ELi2ELi3ELi4ELi5EEEELi5ELi4EEEDF16_NS5_IJPKDF16_EEEDF16_S8_S8_S9_NSB_INS5_IJSE_SG_SI_SI_SG_SG_SK_SK_SG_SN_SN_SP_SP_SR_SG_SG_NSQ_INS5_IJiNS_17integral_constantIiLi128EEEEEELb0EEENSF_INS27_IiLi2EEEEEEEENS5_IJSU_SV_SW_SX_SY_SZ_S10_S11_S12_S13_S14_S15_S16_S17_S18_NST_IJLi19EEEES1G_NST_IJLi20EEEEEEENS5_IJS1A_SZ_S10_S11_S12_S1B_S1C_S1D_S1E_S15_S16_S18_S17_S1F_S1G_NST_IJLi22EEEENST_IJLi23ELi24EEEENST_IJLi25EEEEEEENST_IJLi22ELi23ELi24ELi25EEEElEENSB_INS5_IJSR_SP_SP_SR_SG_SG_S2A_S2C_EEENS5_IJSU_SV_SW_SY_SX_SZ_S11_S10_EEENS5_IJS1M_SX_SY_S1N_S11_S12_NST_IJLi9ELi10EEEENST_IJLi11EEEEEEENST_IJLi8ELi9ELi10ELi11EEEElEENS5_IJNSB_INS5_IJSK_SP_SP_NSQ_INS5_IJiS2B_NS27_IiLi64EEEEEELb0EEES2W_EEENS5_IJSU_SV_SW_SX_SY_EEENS5_IJS1M_SX_SY_NST_IJLi5ELi6ELi7EEEENST_IJLi8ELi9ELi10EEEEEEENST_IJLi5ELi6ELi7ELi8ELi9ELi10EEEElEEEEES33_NS_31BlockToCTileMap_M00_N00_M01_N01ILi128ELi128ES1V_Lb0EEENS1_30ComputePtrOffsetOfStridedBatchILi1ELi1ELi1EvEELb0ELb0EEEvPKT0_S3B_T1_PT2_T3_T4_T5_iT6_T7_T8_T9_T10_T11_
	.p2align	8
	.type	_ZN2ck16tensor_operation6device12_GLOBAL__N_137kernel_grouped_conv_fwd_dl_multiple_dINS_32GridwiseGemmDlMultipleD_km_kn_mnILi256EDF16_fNS_5TupleIJDF16_EEEDF16_NS0_12element_wise11PassThroughES8_NS7_7AddReluELNS_25InMemoryDataOperationEnumE0ENS_16TensorDescriptorINS5_IJNS_5EmbedINS5_IJiiiiEEESD_Lb0EEENS_11PassThroughIiEENS_3PadIiiiLb0EEESI_SG_SG_NSC_INS5_IJiiEEESJ_Lb0EEESK_SG_NS_23Merge_v2_magic_divisionINS5_IJiiiEEEEESN_NS_8RightPadIiiLb0EEESP_NS_7UnMergeISJ_Lb0EEESG_EEENS5_IJNS_8SequenceIJLi0EEEENST_IJLi1EEEENST_IJLi2EEEENST_IJLi3EEEENST_IJLi4EEEENST_IJLi5EEEENST_IJLi6EEEENST_IJLi7EEEENST_IJLi8EEEENST_IJLi9ELi11ELi13EEEENST_IJLi10ELi12ELi14EEEENST_IJLi15EEEENST_IJLi16EEEENST_IJLi18EEEENST_IJLi17EEEEEEENS5_IJNST_IJLi1ELi2ELi3ELi4EEEESZ_S10_S11_S12_NST_IJLi9EEEENST_IJLi10ELi11EEEENST_IJLi12ELi13EEEENST_IJLi14EEEES15_S16_S18_S17_NST_IJLi19ELi20EEEENST_IJLi21EEEEEEENST_IJLi19ELi21ELi20EEEElEENSB_INS5_IJSR_SP_SP_SR_SG_EEENS5_IJSU_SV_SW_SY_SX_EEENS5_IJNST_IJLi1ELi2EEEESX_SY_NST_IJLi5ELi6EEEES11_EEENST_IJLi5ELi7ELi6EEEElEENSB_INS5_IJSK_SP_SP_EEENS5_IJSU_SV_SW_EEENS5_IJS1M_SX_SY_EEENST_IJLi3ELi4EEEElEELi128ELi128ELi16ELi2ELi4ELi4ELi1ENST_IJLi8ELi2EEEES1W_NST_IJLi8ELi1ELi1ELi2EEEENST_IJLi2ELi1ELi128ELi1EEEENST_IJLi1ELi2ELi0ELi3EEEES1Z_NST_IJLi4ELi1ELi1ELi2EEEES1Z_NST_IJLi1ELi1ELi1ELi2EEEES1X_S1Y_S1Z_S1Z_S20_S1Z_S21_NST_IJLi0ELi1ELi2ELi3ELi4ELi5EEEELi5ELi4EEEDF16_NS5_IJPKDF16_EEEDF16_S8_S8_S9_NSB_INS5_IJSE_SG_SI_SI_SG_SG_SK_SK_SG_SN_SN_SP_SP_SR_SG_SG_NSQ_INS5_IJiNS_17integral_constantIiLi128EEEEEELb0EEENSF_INS27_IiLi2EEEEEEEENS5_IJSU_SV_SW_SX_SY_SZ_S10_S11_S12_S13_S14_S15_S16_S17_S18_NST_IJLi19EEEES1G_NST_IJLi20EEEEEEENS5_IJS1A_SZ_S10_S11_S12_S1B_S1C_S1D_S1E_S15_S16_S18_S17_S1F_S1G_NST_IJLi22EEEENST_IJLi23ELi24EEEENST_IJLi25EEEEEEENST_IJLi22ELi23ELi24ELi25EEEElEENSB_INS5_IJSR_SP_SP_SR_SG_SG_S2A_S2C_EEENS5_IJSU_SV_SW_SY_SX_SZ_S11_S10_EEENS5_IJS1M_SX_SY_S1N_S11_S12_NST_IJLi9ELi10EEEENST_IJLi11EEEEEEENST_IJLi8ELi9ELi10ELi11EEEElEENS5_IJNSB_INS5_IJSK_SP_SP_NSQ_INS5_IJiS2B_NS27_IiLi64EEEEEELb0EEES2W_EEENS5_IJSU_SV_SW_SX_SY_EEENS5_IJS1M_SX_SY_NST_IJLi5ELi6ELi7EEEENST_IJLi8ELi9ELi10EEEEEEENST_IJLi5ELi6ELi7ELi8ELi9ELi10EEEElEEEEES33_NS_31BlockToCTileMap_M00_N00_M01_N01ILi128ELi128ES1V_Lb0EEENS1_30ComputePtrOffsetOfStridedBatchILi1ELi1ELi1EvEELb0ELb0EEEvPKT0_S3B_T1_PT2_T3_T4_T5_iT6_T7_T8_T9_T10_T11_,@function
_ZN2ck16tensor_operation6device12_GLOBAL__N_137kernel_grouped_conv_fwd_dl_multiple_dINS_32GridwiseGemmDlMultipleD_km_kn_mnILi256EDF16_fNS_5TupleIJDF16_EEEDF16_NS0_12element_wise11PassThroughES8_NS7_7AddReluELNS_25InMemoryDataOperationEnumE0ENS_16TensorDescriptorINS5_IJNS_5EmbedINS5_IJiiiiEEESD_Lb0EEENS_11PassThroughIiEENS_3PadIiiiLb0EEESI_SG_SG_NSC_INS5_IJiiEEESJ_Lb0EEESK_SG_NS_23Merge_v2_magic_divisionINS5_IJiiiEEEEESN_NS_8RightPadIiiLb0EEESP_NS_7UnMergeISJ_Lb0EEESG_EEENS5_IJNS_8SequenceIJLi0EEEENST_IJLi1EEEENST_IJLi2EEEENST_IJLi3EEEENST_IJLi4EEEENST_IJLi5EEEENST_IJLi6EEEENST_IJLi7EEEENST_IJLi8EEEENST_IJLi9ELi11ELi13EEEENST_IJLi10ELi12ELi14EEEENST_IJLi15EEEENST_IJLi16EEEENST_IJLi18EEEENST_IJLi17EEEEEEENS5_IJNST_IJLi1ELi2ELi3ELi4EEEESZ_S10_S11_S12_NST_IJLi9EEEENST_IJLi10ELi11EEEENST_IJLi12ELi13EEEENST_IJLi14EEEES15_S16_S18_S17_NST_IJLi19ELi20EEEENST_IJLi21EEEEEEENST_IJLi19ELi21ELi20EEEElEENSB_INS5_IJSR_SP_SP_SR_SG_EEENS5_IJSU_SV_SW_SY_SX_EEENS5_IJNST_IJLi1ELi2EEEESX_SY_NST_IJLi5ELi6EEEES11_EEENST_IJLi5ELi7ELi6EEEElEENSB_INS5_IJSK_SP_SP_EEENS5_IJSU_SV_SW_EEENS5_IJS1M_SX_SY_EEENST_IJLi3ELi4EEEElEELi128ELi128ELi16ELi2ELi4ELi4ELi1ENST_IJLi8ELi2EEEES1W_NST_IJLi8ELi1ELi1ELi2EEEENST_IJLi2ELi1ELi128ELi1EEEENST_IJLi1ELi2ELi0ELi3EEEES1Z_NST_IJLi4ELi1ELi1ELi2EEEES1Z_NST_IJLi1ELi1ELi1ELi2EEEES1X_S1Y_S1Z_S1Z_S20_S1Z_S21_NST_IJLi0ELi1ELi2ELi3ELi4ELi5EEEELi5ELi4EEEDF16_NS5_IJPKDF16_EEEDF16_S8_S8_S9_NSB_INS5_IJSE_SG_SI_SI_SG_SG_SK_SK_SG_SN_SN_SP_SP_SR_SG_SG_NSQ_INS5_IJiNS_17integral_constantIiLi128EEEEEELb0EEENSF_INS27_IiLi2EEEEEEEENS5_IJSU_SV_SW_SX_SY_SZ_S10_S11_S12_S13_S14_S15_S16_S17_S18_NST_IJLi19EEEES1G_NST_IJLi20EEEEEEENS5_IJS1A_SZ_S10_S11_S12_S1B_S1C_S1D_S1E_S15_S16_S18_S17_S1F_S1G_NST_IJLi22EEEENST_IJLi23ELi24EEEENST_IJLi25EEEEEEENST_IJLi22ELi23ELi24ELi25EEEElEENSB_INS5_IJSR_SP_SP_SR_SG_SG_S2A_S2C_EEENS5_IJSU_SV_SW_SY_SX_SZ_S11_S10_EEENS5_IJS1M_SX_SY_S1N_S11_S12_NST_IJLi9ELi10EEEENST_IJLi11EEEEEEENST_IJLi8ELi9ELi10ELi11EEEElEENS5_IJNSB_INS5_IJSK_SP_SP_NSQ_INS5_IJiS2B_NS27_IiLi64EEEEEELb0EEES2W_EEENS5_IJSU_SV_SW_SX_SY_EEENS5_IJS1M_SX_SY_NST_IJLi5ELi6ELi7EEEENST_IJLi8ELi9ELi10EEEEEEENST_IJLi5ELi6ELi7ELi8ELi9ELi10EEEElEEEEES33_NS_31BlockToCTileMap_M00_N00_M01_N01ILi128ELi128ES1V_Lb0EEENS1_30ComputePtrOffsetOfStridedBatchILi1ELi1ELi1EvEELb0ELb0EEEvPKT0_S3B_T1_PT2_T3_T4_T5_iT6_T7_T8_T9_T10_T11_: ; @_ZN2ck16tensor_operation6device12_GLOBAL__N_137kernel_grouped_conv_fwd_dl_multiple_dINS_32GridwiseGemmDlMultipleD_km_kn_mnILi256EDF16_fNS_5TupleIJDF16_EEEDF16_NS0_12element_wise11PassThroughES8_NS7_7AddReluELNS_25InMemoryDataOperationEnumE0ENS_16TensorDescriptorINS5_IJNS_5EmbedINS5_IJiiiiEEESD_Lb0EEENS_11PassThroughIiEENS_3PadIiiiLb0EEESI_SG_SG_NSC_INS5_IJiiEEESJ_Lb0EEESK_SG_NS_23Merge_v2_magic_divisionINS5_IJiiiEEEEESN_NS_8RightPadIiiLb0EEESP_NS_7UnMergeISJ_Lb0EEESG_EEENS5_IJNS_8SequenceIJLi0EEEENST_IJLi1EEEENST_IJLi2EEEENST_IJLi3EEEENST_IJLi4EEEENST_IJLi5EEEENST_IJLi6EEEENST_IJLi7EEEENST_IJLi8EEEENST_IJLi9ELi11ELi13EEEENST_IJLi10ELi12ELi14EEEENST_IJLi15EEEENST_IJLi16EEEENST_IJLi18EEEENST_IJLi17EEEEEEENS5_IJNST_IJLi1ELi2ELi3ELi4EEEESZ_S10_S11_S12_NST_IJLi9EEEENST_IJLi10ELi11EEEENST_IJLi12ELi13EEEENST_IJLi14EEEES15_S16_S18_S17_NST_IJLi19ELi20EEEENST_IJLi21EEEEEEENST_IJLi19ELi21ELi20EEEElEENSB_INS5_IJSR_SP_SP_SR_SG_EEENS5_IJSU_SV_SW_SY_SX_EEENS5_IJNST_IJLi1ELi2EEEESX_SY_NST_IJLi5ELi6EEEES11_EEENST_IJLi5ELi7ELi6EEEElEENSB_INS5_IJSK_SP_SP_EEENS5_IJSU_SV_SW_EEENS5_IJS1M_SX_SY_EEENST_IJLi3ELi4EEEElEELi128ELi128ELi16ELi2ELi4ELi4ELi1ENST_IJLi8ELi2EEEES1W_NST_IJLi8ELi1ELi1ELi2EEEENST_IJLi2ELi1ELi128ELi1EEEENST_IJLi1ELi2ELi0ELi3EEEES1Z_NST_IJLi4ELi1ELi1ELi2EEEES1Z_NST_IJLi1ELi1ELi1ELi2EEEES1X_S1Y_S1Z_S1Z_S20_S1Z_S21_NST_IJLi0ELi1ELi2ELi3ELi4ELi5EEEELi5ELi4EEEDF16_NS5_IJPKDF16_EEEDF16_S8_S8_S9_NSB_INS5_IJSE_SG_SI_SI_SG_SG_SK_SK_SG_SN_SN_SP_SP_SR_SG_SG_NSQ_INS5_IJiNS_17integral_constantIiLi128EEEEEELb0EEENSF_INS27_IiLi2EEEEEEEENS5_IJSU_SV_SW_SX_SY_SZ_S10_S11_S12_S13_S14_S15_S16_S17_S18_NST_IJLi19EEEES1G_NST_IJLi20EEEEEEENS5_IJS1A_SZ_S10_S11_S12_S1B_S1C_S1D_S1E_S15_S16_S18_S17_S1F_S1G_NST_IJLi22EEEENST_IJLi23ELi24EEEENST_IJLi25EEEEEEENST_IJLi22ELi23ELi24ELi25EEEElEENSB_INS5_IJSR_SP_SP_SR_SG_SG_S2A_S2C_EEENS5_IJSU_SV_SW_SY_SX_SZ_S11_S10_EEENS5_IJS1M_SX_SY_S1N_S11_S12_NST_IJLi9ELi10EEEENST_IJLi11EEEEEEENST_IJLi8ELi9ELi10ELi11EEEElEENS5_IJNSB_INS5_IJSK_SP_SP_NSQ_INS5_IJiS2B_NS27_IiLi64EEEEEELb0EEES2W_EEENS5_IJSU_SV_SW_SX_SY_EEENS5_IJS1M_SX_SY_NST_IJLi5ELi6ELi7EEEENST_IJLi8ELi9ELi10EEEEEEENST_IJLi5ELi6ELi7ELi8ELi9ELi10EEEElEEEEES33_NS_31BlockToCTileMap_M00_N00_M01_N01ILi128ELi128ES1V_Lb0EEENS1_30ComputePtrOffsetOfStridedBatchILi1ELi1ELi1EvEELb0ELb0EEEvPKT0_S3B_T1_PT2_T3_T4_T5_iT6_T7_T8_T9_T10_T11_
; %bb.0:
	s_load_dwordx8 s[8:15], s[4:5], 0x0
	s_load_dword s16, s[4:5], 0x24
	s_load_dwordx4 s[0:3], s[4:5], 0x38
	s_load_dword s33, s[4:5], 0x50
	s_load_dwordx4 s[24:27], s[4:5], 0x4c
	;; [unrolled: 2-line block ×3, first 2 shown]
	s_load_dwordx2 s[48:49], s[4:5], 0x74
	s_load_dwordx2 s[50:51], s[4:5], 0x84
	;; [unrolled: 1-line block ×8, first 2 shown]
	s_waitcnt lgkmcnt(0)
	s_abs_i32 s17, s16
	v_cvt_f32_u32_e32 v1, s17
	s_load_dword s69, s[4:5], 0x100
	s_load_dword s68, s[4:5], 0x128
	;; [unrolled: 1-line block ×7, first 2 shown]
	s_sub_i32 s19, 0, s17
	s_load_dword s66, s[4:5], 0x188
	s_load_dwordx2 s[34:35], s[4:5], 0x198
	s_load_dword s25, s[4:5], 0x1a4
	s_load_dword s27, s[4:5], 0x1b0
	;; [unrolled: 1-line block ×3, first 2 shown]
	v_rcp_iflag_f32_e32 v1, v1
	s_load_dword s74, s[4:5], 0x244
	s_load_dword s70, s[4:5], 0x254
	s_load_dwordx4 s[36:39], s[4:5], 0x260
	s_load_dwordx4 s[40:43], s[4:5], 0x274
	s_waitcnt lgkmcnt(0)
	s_xor_b32 s16, s18, s16
	s_abs_i32 s18, s18
	v_mul_f32_e32 v1, 0x4f7ffffe, v1
	v_cvt_u32_f32_e32 v1, v1
	s_ashr_i32 s16, s16, 31
	v_lshrrev_b32_e32 v23, 1, v0
	v_lshlrev_b32_e32 v30, 1, v0
	v_readfirstlane_b32 s20, v1
	s_mul_i32 s19, s19, s20
	s_mul_hi_u32 s19, s20, s19
	s_add_i32 s20, s20, s19
	s_mul_hi_u32 s19, s18, s20
	s_mul_i32 s20, s19, s17
	s_sub_i32 s18, s18, s20
	s_add_i32 s20, s19, 1
	s_sub_i32 s21, s18, s17
	s_cmp_ge_u32 s18, s17
	s_cselect_b32 s19, s20, s19
	s_cselect_b32 s18, s21, s18
	s_add_i32 s20, s19, 1
	s_cmp_ge_u32 s18, s17
	s_cselect_b32 s17, s20, s19
	s_xor_b32 s17, s17, s16
	s_sub_i32 s71, s17, s16
	s_abs_i32 s72, s71
	v_cvt_f32_u32_e32 v1, s72
	s_sub_i32 s75, 0, s72
	s_abs_i32 s73, s6
	s_xor_b32 s71, s6, s71
	v_rcp_iflag_f32_e32 v1, v1
	s_ashr_i32 s71, s71, 31
	s_load_dwordx4 s[44:47], s[4:5], 0x288
	s_load_dwordx8 s[16:23], s[4:5], 0x2a0
	v_and_b32_e32 v31, 0x1f8, v30
	v_mul_f32_e32 v1, 0x4f7ffffe, v1
	v_cvt_u32_f32_e32 v1, v1
	v_readfirstlane_b32 s76, v1
	s_mul_i32 s75, s75, s76
	s_mul_hi_u32 s75, s76, s75
	s_add_i32 s76, s76, s75
	s_mul_hi_u32 s75, s73, s76
	s_mul_i32 s76, s75, s72
	s_sub_i32 s73, s73, s76
	s_add_i32 s76, s75, 1
	s_sub_i32 s77, s73, s72
	s_cmp_ge_u32 s73, s72
	s_cselect_b32 s75, s76, s75
	s_cselect_b32 s73, s77, s73
	s_add_i32 s76, s75, 1
	s_cmp_ge_u32 s73, s72
	s_cselect_b32 s72, s76, s75
	s_xor_b32 s72, s72, s71
	s_sub_i32 s71, s72, s71
	s_ashr_i32 s75, s71, 31
	s_waitcnt lgkmcnt(0)
	s_mul_i32 s72, s16, s75
	s_mul_hi_u32 s73, s16, s71
	s_add_i32 s72, s73, s72
	s_mul_i32 s17, s17, s71
	s_add_i32 s73, s72, s17
	s_mul_i32 s72, s16, s71
	s_mul_i32 s16, s18, s75
	s_mul_hi_u32 s17, s18, s71
	s_add_i32 s16, s17, s16
	s_mul_i32 s17, s19, s71
	s_add_i32 s19, s16, s17
	s_mul_i32 s16, s22, s75
	s_mul_hi_u32 s17, s22, s71
	s_add_i32 s16, s17, s16
	s_mul_i32 s17, s23, s71
	s_add_i32 s23, s16, s17
	;; [unrolled: 5-line block ×3, first 2 shown]
	s_mul_i32 s16, s20, s71
	s_lshl_b64 s[16:17], s[16:17], 1
	s_add_u32 s16, s12, s16
	s_addc_u32 s17, s13, s17
	s_lshl_b64 s[12:13], s[72:73], 1
	s_mul_i32 s18, s18, s71
	s_add_u32 s12, s8, s12
	s_addc_u32 s13, s9, s13
	s_lshl_b64 s[8:9], s[18:19], 1
	s_mul_i32 s22, s22, s71
	s_add_u32 s20, s10, s8
	s_addc_u32 s10, s11, s9
	s_lshl_b64 s[8:9], s[22:23], 1
	s_add_u32 s8, s14, s8
	s_mul_hi_u32 s11, s43, s6
	s_addc_u32 s9, s15, s9
	s_add_i32 s11, s6, s11
	s_lshr_b32 s11, s11, s47
	s_mul_hi_u32 s15, s11, s42
	s_add_i32 s15, s11, s15
	s_lshr_b32 s18, s15, s46
	s_mul_i32 s15, s18, s38
	s_mul_i32 s14, s11, s39
	s_sub_i32 s11, s11, s15
	s_mul_hi_u32 s15, s18, s41
	s_add_i32 s15, s18, s15
	s_lshr_b32 s19, s15, s45
	s_mul_hi_u32 s15, s19, s40
	s_add_i32 s15, s19, s15
	s_lshr_b32 s15, s15, s44
	v_lshlrev_b32_e32 v1, 3, v0
	s_mul_i32 s15, s15, s36
	v_and_b32_e32 v21, 8, v1
	v_mul_lo_u32 v22, s69, v21
	s_sub_i32 s15, s19, s15
	s_mul_i32 s15, s15, s74
	s_add_i32 s11, s11, s15
	s_lshl_b32 s11, s11, 7
	v_mul_hi_u32 v1, v22, s57
	v_or_b32_e32 v24, s11, v23
	v_mul_hi_u32 v3, v24, s63
	s_sub_i32 s6, s6, s14
	v_add_u32_e32 v1, v22, v1
	v_lshrrev_b32_e32 v1, s55, v1
	v_add_u32_e32 v3, v24, v3
	v_mul_hi_u32 v2, v1, s56
	v_lshrrev_b32_e32 v3, s61, v3
	v_mul_hi_u32 v5, v3, s62
	v_mul_lo_u32 v4, v1, s53
	v_add_u32_e32 v2, v1, v2
	v_lshrrev_b32_e32 v8, s54, v2
	v_add_u32_e32 v5, v3, v5
	v_mul_lo_u32 v2, v8, s52
	v_lshrrev_b32_e32 v5, s60, v5
	v_mul_lo_u32 v7, v5, s58
	v_mul_lo_u32 v6, v3, s59
	v_sub_u32_e32 v1, v1, v2
	v_mul_lo_u32 v2, v1, s50
	v_sub_u32_e32 v7, v3, v7
	;; [unrolled: 2-line block ×3, first 2 shown]
	s_mul_i32 s19, s19, s37
	s_and_b32 s13, s13, 0xffff
	v_mad_u64_u32 v[18:19], s[14:15], v6, s51, v[2:3]
	v_mad_u64_u32 v[19:20], s[14:15], v7, s49, v[3:4]
	v_sub_u32_e32 v6, v22, v4
	v_mul_lo_u32 v4, v5, s0
	v_subrev_u32_e32 v2, s33, v19
	v_mul_lo_u32 v5, v2, s1
	v_mul_lo_u32 v2, v6, s3
	v_or_b32_e32 v7, 4, v21
	v_mul_lo_u32 v25, s69, v7
	v_subrev_u32_e32 v3, s64, v18
	v_mad_u64_u32 v[2:3], s[14:15], v3, s2, v[2:3]
	v_mul_hi_u32 v3, v25, s57
	s_sub_i32 s0, s18, s19
	v_add3_u32 v9, v2, v4, v5
	s_mul_i32 s0, s0, s70
	v_add_u32_e32 v2, v25, v3
	v_lshrrev_b32_e32 v10, s55, v2
	v_mul_hi_u32 v2, v10, s56
	v_mad_u64_u32 v[6:7], s[18:19], v10, s53, v[6:7]
	s_lshl_b32 s14, s68, 1
	v_add_u32_e32 v2, v10, v2
	v_lshrrev_b32_e32 v11, s54, v2
	v_mad_u64_u32 v[1:2], s[18:19], v11, s52, v[1:2]
	v_sub_u32_e32 v7, v11, v8
	v_mul_lo_u32 v26, v7, s48
	v_sub_u32_e32 v1, v10, v1
	v_mul_lo_u32 v27, v1, s50
	s_mov_b32 s15, 0x20000
	v_lshlrev_b32_e32 v3, 1, v9
	v_sub_u32_e32 v1, v25, v6
	v_mul_lo_u32 v20, s7, v21
	buffer_load_dwordx4 v[2:5], v3, s[12:15], 0 offen
	s_add_i32 s6, s6, s0
	v_mul_lo_u32 v6, v26, s1
	v_mul_lo_u32 v7, v27, s2
	;; [unrolled: 1-line block ×3, first 2 shown]
	s_lshl_b32 s18, s6, 7
	v_or_b32_e32 v28, s18, v23
	v_mad_u64_u32 v[14:15], s[0:1], v28, s67, v[20:21]
	v_add3_u32 v1, v6, v1, v7
	v_add_lshl_u32 v1, v1, v9, 1
	buffer_load_dwordx4 v[6:9], v1, s[12:15], 0 offen
	s_lshl_b32 s22, s66, 1
	s_and_b32 s21, s10, 0xffff
	s_mov_b32 s23, s15
	v_lshlrev_b32_e32 v1, 1, v14
	buffer_load_dwordx4 v[10:13], v1, s[20:23], 0 offen
	s_lshl_b32 s10, s7, 2
	v_add_lshl_u32 v1, v14, s10, 1
	buffer_load_dwordx4 v[14:17], v1, s[20:23], 0 offen
	s_load_dword s0, s[4:5], 0xe4
	s_load_dword s12, s[4:5], 0xf0
	s_sub_i32 s13, s28, s30
	v_cmp_gt_i32_e64 s[6:7], s13, v18
	v_cmp_le_i32_e64 s[2:3], s64, v18
	s_sub_i32 s14, s24, s26
	s_waitcnt lgkmcnt(0)
	v_cmp_gt_i32_e32 vcc, s12, v22
	s_and_b64 s[6:7], s[6:7], vcc
	s_and_b64 s[6:7], s[6:7], s[2:3]
	v_cmp_le_i32_e32 vcc, s33, v19
	v_cmp_gt_i32_e64 s[2:3], s14, v19
	s_and_b64 s[2:3], vcc, s[2:3]
	v_cmp_gt_i32_e64 s[0:1], s0, v24
	s_and_b64 s[2:3], s[6:7], s[2:3]
	s_and_b64 vcc, s[0:1], s[2:3]
	v_add_u32_e32 v18, v18, v27
	v_cmp_gt_i32_e64 s[6:7], s13, v18
	v_add_u32_e32 v19, v19, v26
	v_cmp_le_i32_e64 s[2:3], s64, v18
	v_lshrrev_b32_e32 v1, 5, v0
	v_lshlrev_b32_e32 v29, 6, v1
	v_add_u32_e32 v18, s10, v20
	v_sub_u32_e32 v29, v31, v29
	v_lshlrev_b32_e32 v0, 2, v0
	v_lshlrev_b32_e32 v1, 3, v1
	v_and_or_b32 v0, v0, 4, v29
	v_and_or_b32 v1, v30, 4, v1
	s_and_b32 s17, s17, 0xffff
	s_mov_b32 s19, s15
	s_and_b32 s9, s9, 0xffff
	s_waitcnt vmcnt(3)
	v_cndmask_b32_e32 v5, 0, v5, vcc
	v_cndmask_b32_e32 v4, 0, v4, vcc
	;; [unrolled: 1-line block ×4, first 2 shown]
	v_cmp_gt_i32_e32 vcc, s12, v25
	s_and_b64 s[6:7], s[6:7], vcc
	s_and_b64 s[6:7], s[6:7], s[2:3]
	v_cmp_le_i32_e32 vcc, s33, v19
	v_cmp_gt_i32_e64 s[2:3], s14, v19
	s_and_b64 s[2:3], vcc, s[2:3]
	s_and_b64 s[2:3], s[6:7], s[2:3]
	s_and_b64 vcc, s[0:1], s[2:3]
	s_waitcnt vmcnt(2)
	v_cndmask_b32_e32 v9, 0, v9, vcc
	v_cndmask_b32_e32 v8, 0, v8, vcc
	;; [unrolled: 1-line block ×4, first 2 shown]
	v_cmp_gt_i32_e32 vcc, s31, v20
	v_cmp_gt_i32_e64 s[0:1], s65, v28
	s_and_b64 vcc, vcc, s[0:1]
	s_waitcnt vmcnt(1)
	v_cndmask_b32_e32 v13, 0, v13, vcc
	v_cndmask_b32_e32 v12, 0, v12, vcc
	;; [unrolled: 1-line block ×4, first 2 shown]
	v_cmp_gt_i32_e32 vcc, s31, v18
	v_lshlrev_b32_e32 v18, 2, v23
	s_and_b64 vcc, vcc, s[0:1]
	v_lshl_or_b32 v18, v21, 9, v18
	s_waitcnt vmcnt(0)
	v_cndmask_b32_e32 v17, 0, v17, vcc
	v_cndmask_b32_e32 v16, 0, v16, vcc
	v_cndmask_b32_e32 v15, 0, v15, vcc
	v_cndmask_b32_e32 v14, 0, v14, vcc
	ds_write2st64_b32 v18, v2, v3 offset1:2
	ds_write2st64_b32 v18, v4, v5 offset0:4 offset1:6
	ds_write2st64_b32 v18, v6, v7 offset0:8 offset1:10
	;; [unrolled: 1-line block ×7, first 2 shown]
	v_lshlrev_b32_e32 v2, 2, v1
	v_lshlrev_b32_e32 v3, 2, v0
	s_waitcnt lgkmcnt(0)
	s_barrier
	ds_read_b128 v[4:7], v2
	ds_read_b128 v[8:11], v3 offset:16384
	s_load_dwordx2 s[6:7], s[4:5], 0x1e8
	s_load_dword s12, s[4:5], 0x1f4
	s_load_dword s13, s[4:5], 0x200
	;; [unrolled: 1-line block ×3, first 2 shown]
	ds_read_b128 v[12:15], v3 offset:16640
	ds_read_b128 v[16:19], v2 offset:256
	s_waitcnt lgkmcnt(0)
	v_dot2_f32_f16 v20, v4, v8, 0
	v_dot2_f32_f16 v21, v4, v9, 0
	;; [unrolled: 1-line block ×32, first 2 shown]
	ds_read_b128 v[4:7], v2 offset:512
	v_dot2_f32_f16 v52, v16, v8, 0
	v_dot2_f32_f16 v53, v16, v9, 0
	;; [unrolled: 1-line block ×16, first 2 shown]
	ds_read_b128 v[8:11], v3 offset:16896
	v_dot2_f32_f16 v68, v16, v12, 0
	v_dot2_f32_f16 v69, v16, v13, 0
	;; [unrolled: 1-line block ×16, first 2 shown]
	ds_read_b128 v[12:15], v3 offset:17152
	ds_read_b128 v[16:19], v2 offset:768
	s_waitcnt lgkmcnt(2)
	v_dot2_f32_f16 v20, v4, v8, v20
	v_dot2_f32_f16 v21, v4, v9, v21
	v_dot2_f32_f16 v22, v4, v10, v22
	v_dot2_f32_f16 v23, v4, v11, v23
	v_dot2_f32_f16 v24, v5, v8, v24
	v_dot2_f32_f16 v25, v5, v9, v25
	v_dot2_f32_f16 v26, v5, v10, v26
	v_dot2_f32_f16 v27, v5, v11, v27
	v_dot2_f32_f16 v28, v6, v8, v28
	v_dot2_f32_f16 v29, v6, v9, v29
	v_dot2_f32_f16 v30, v6, v10, v30
	v_dot2_f32_f16 v31, v6, v11, v31
	v_dot2_f32_f16 v32, v7, v8, v32
	v_dot2_f32_f16 v33, v7, v9, v33
	v_dot2_f32_f16 v34, v7, v10, v34
	v_dot2_f32_f16 v35, v7, v11, v35
	s_waitcnt lgkmcnt(1)
	v_dot2_f32_f16 v36, v4, v12, v36
	v_dot2_f32_f16 v37, v4, v13, v37
	;; [unrolled: 1-line block ×16, first 2 shown]
	ds_read_b128 v[4:7], v2 offset:1024
	s_waitcnt lgkmcnt(1)
	v_dot2_f32_f16 v52, v16, v8, v52
	v_dot2_f32_f16 v53, v16, v9, v53
	;; [unrolled: 1-line block ×16, first 2 shown]
	ds_read_b128 v[8:11], v3 offset:17408
	v_dot2_f32_f16 v68, v16, v12, v68
	v_dot2_f32_f16 v69, v16, v13, v69
	;; [unrolled: 1-line block ×16, first 2 shown]
	ds_read_b128 v[12:15], v3 offset:17664
	ds_read_b128 v[16:19], v2 offset:1280
	s_waitcnt lgkmcnt(2)
	v_dot2_f32_f16 v20, v4, v8, v20
	v_dot2_f32_f16 v21, v4, v9, v21
	;; [unrolled: 1-line block ×16, first 2 shown]
	s_waitcnt lgkmcnt(1)
	v_dot2_f32_f16 v36, v4, v12, v36
	v_dot2_f32_f16 v37, v4, v13, v37
	v_dot2_f32_f16 v38, v4, v14, v38
	v_dot2_f32_f16 v39, v4, v15, v39
	v_dot2_f32_f16 v40, v5, v12, v40
	v_dot2_f32_f16 v41, v5, v13, v41
	v_dot2_f32_f16 v42, v5, v14, v42
	v_dot2_f32_f16 v43, v5, v15, v43
	v_dot2_f32_f16 v44, v6, v12, v44
	v_dot2_f32_f16 v45, v6, v13, v45
	v_dot2_f32_f16 v46, v6, v14, v46
	v_dot2_f32_f16 v47, v6, v15, v47
	v_dot2_f32_f16 v48, v7, v12, v48
	v_dot2_f32_f16 v49, v7, v13, v49
	v_dot2_f32_f16 v50, v7, v14, v50
	v_dot2_f32_f16 v51, v7, v15, v51
	ds_read_b128 v[4:7], v2 offset:1536
	s_waitcnt lgkmcnt(1)
	v_dot2_f32_f16 v52, v16, v8, v52
	v_dot2_f32_f16 v53, v16, v9, v53
	;; [unrolled: 1-line block ×16, first 2 shown]
	ds_read_b128 v[8:11], v3 offset:17920
	v_dot2_f32_f16 v68, v16, v12, v68
	v_dot2_f32_f16 v69, v16, v13, v69
	;; [unrolled: 1-line block ×16, first 2 shown]
	ds_read_b128 v[12:15], v3 offset:18176
	ds_read_b128 v[16:19], v2 offset:1792
	s_waitcnt lgkmcnt(2)
	v_dot2_f32_f16 v20, v4, v8, v20
	v_dot2_f32_f16 v21, v4, v9, v21
	;; [unrolled: 1-line block ×16, first 2 shown]
	s_waitcnt lgkmcnt(1)
	v_dot2_f32_f16 v36, v4, v12, v36
	v_dot2_f32_f16 v37, v4, v13, v37
	v_dot2_f32_f16 v38, v4, v14, v38
	v_dot2_f32_f16 v39, v4, v15, v39
	v_dot2_f32_f16 v40, v5, v12, v40
	v_dot2_f32_f16 v41, v5, v13, v41
	v_dot2_f32_f16 v42, v5, v14, v42
	v_dot2_f32_f16 v43, v5, v15, v43
	v_dot2_f32_f16 v44, v6, v12, v44
	v_dot2_f32_f16 v45, v6, v13, v45
	v_dot2_f32_f16 v46, v6, v14, v46
	v_dot2_f32_f16 v47, v6, v15, v47
	v_dot2_f32_f16 v48, v7, v12, v48
	v_dot2_f32_f16 v49, v7, v13, v49
	v_dot2_f32_f16 v50, v7, v14, v50
	v_dot2_f32_f16 v51, v7, v15, v51
	ds_read_b128 v[4:7], v2 offset:2048
	s_waitcnt lgkmcnt(1)
	v_dot2_f32_f16 v52, v16, v8, v52
	v_dot2_f32_f16 v53, v16, v9, v53
	;; [unrolled: 1-line block ×16, first 2 shown]
	ds_read_b128 v[8:11], v3 offset:18432
	v_dot2_f32_f16 v68, v16, v12, v68
	v_dot2_f32_f16 v69, v16, v13, v69
	;; [unrolled: 1-line block ×16, first 2 shown]
	ds_read_b128 v[12:15], v3 offset:18688
	ds_read_b128 v[16:19], v2 offset:2304
	s_waitcnt lgkmcnt(2)
	v_dot2_f32_f16 v20, v4, v8, v20
	v_dot2_f32_f16 v21, v4, v9, v21
	;; [unrolled: 1-line block ×16, first 2 shown]
	s_waitcnt lgkmcnt(1)
	v_dot2_f32_f16 v36, v4, v12, v36
	v_dot2_f32_f16 v37, v4, v13, v37
	;; [unrolled: 1-line block ×16, first 2 shown]
	ds_read_b128 v[4:7], v2 offset:2560
	s_waitcnt lgkmcnt(1)
	v_dot2_f32_f16 v52, v16, v8, v52
	v_dot2_f32_f16 v53, v16, v9, v53
	v_dot2_f32_f16 v54, v16, v10, v54
	v_dot2_f32_f16 v55, v16, v11, v55
	v_dot2_f32_f16 v56, v17, v8, v56
	v_dot2_f32_f16 v57, v17, v9, v57
	v_dot2_f32_f16 v58, v17, v10, v58
	v_dot2_f32_f16 v59, v17, v11, v59
	v_dot2_f32_f16 v60, v18, v8, v60
	v_dot2_f32_f16 v61, v18, v9, v61
	v_dot2_f32_f16 v62, v18, v10, v62
	v_dot2_f32_f16 v63, v18, v11, v63
	v_dot2_f32_f16 v64, v19, v8, v64
	v_dot2_f32_f16 v65, v19, v9, v65
	v_dot2_f32_f16 v66, v19, v10, v66
	v_dot2_f32_f16 v67, v19, v11, v67
	ds_read_b128 v[8:11], v3 offset:18944
	v_dot2_f32_f16 v68, v16, v12, v68
	v_dot2_f32_f16 v69, v16, v13, v69
	;; [unrolled: 1-line block ×16, first 2 shown]
	ds_read_b128 v[12:15], v3 offset:19200
	ds_read_b128 v[16:19], v2 offset:2816
	s_waitcnt lgkmcnt(2)
	v_dot2_f32_f16 v20, v4, v8, v20
	v_dot2_f32_f16 v21, v4, v9, v21
	;; [unrolled: 1-line block ×16, first 2 shown]
	s_waitcnt lgkmcnt(1)
	v_dot2_f32_f16 v36, v4, v12, v36
	v_dot2_f32_f16 v37, v4, v13, v37
	;; [unrolled: 1-line block ×16, first 2 shown]
	ds_read_b128 v[4:7], v2 offset:3072
	s_waitcnt lgkmcnt(1)
	v_dot2_f32_f16 v52, v16, v8, v52
	v_dot2_f32_f16 v53, v16, v9, v53
	;; [unrolled: 1-line block ×16, first 2 shown]
	ds_read_b128 v[8:11], v3 offset:19456
	v_dot2_f32_f16 v68, v16, v12, v68
	v_dot2_f32_f16 v69, v16, v13, v69
	;; [unrolled: 1-line block ×16, first 2 shown]
	ds_read_b128 v[12:15], v3 offset:19712
	ds_read_b128 v[16:19], v2 offset:3328
	s_waitcnt lgkmcnt(2)
	v_dot2_f32_f16 v20, v4, v8, v20
	v_dot2_f32_f16 v21, v4, v9, v21
	;; [unrolled: 1-line block ×16, first 2 shown]
	s_waitcnt lgkmcnt(1)
	v_dot2_f32_f16 v36, v4, v12, v36
	v_dot2_f32_f16 v37, v4, v13, v37
	;; [unrolled: 1-line block ×16, first 2 shown]
	ds_read_b128 v[4:7], v2 offset:3584
	s_waitcnt lgkmcnt(1)
	v_dot2_f32_f16 v52, v16, v8, v52
	v_dot2_f32_f16 v53, v16, v9, v53
	;; [unrolled: 1-line block ×16, first 2 shown]
	ds_read_b128 v[8:11], v3 offset:19968
	v_dot2_f32_f16 v68, v16, v12, v68
	v_dot2_f32_f16 v69, v16, v13, v69
	v_dot2_f32_f16 v70, v16, v14, v70
	v_dot2_f32_f16 v71, v16, v15, v71
	v_dot2_f32_f16 v72, v17, v12, v72
	v_dot2_f32_f16 v73, v17, v13, v73
	v_dot2_f32_f16 v74, v17, v14, v74
	v_dot2_f32_f16 v75, v17, v15, v75
	v_dot2_f32_f16 v76, v18, v12, v76
	v_dot2_f32_f16 v77, v18, v13, v77
	v_dot2_f32_f16 v78, v18, v14, v78
	v_dot2_f32_f16 v79, v18, v15, v79
	v_dot2_f32_f16 v80, v19, v12, v80
	v_dot2_f32_f16 v81, v19, v13, v81
	v_dot2_f32_f16 v82, v19, v14, v82
	v_dot2_f32_f16 v83, v19, v15, v83
	ds_read_b128 v[12:15], v3 offset:20224
	ds_read_b128 v[16:19], v2 offset:3840
	s_waitcnt lgkmcnt(2)
	v_dot2_f32_f16 v20, v4, v8, v20
	v_dot2_f32_f16 v21, v4, v9, v21
	;; [unrolled: 1-line block ×16, first 2 shown]
	s_waitcnt lgkmcnt(1)
	v_dot2_f32_f16 v36, v4, v12, v36
	v_dot2_f32_f16 v37, v4, v13, v37
	;; [unrolled: 1-line block ×16, first 2 shown]
	ds_read_b128 v[4:7], v2 offset:4096
	s_waitcnt lgkmcnt(1)
	v_dot2_f32_f16 v52, v16, v8, v52
	v_dot2_f32_f16 v53, v16, v9, v53
	v_dot2_f32_f16 v54, v16, v10, v54
	v_dot2_f32_f16 v55, v16, v11, v55
	v_dot2_f32_f16 v56, v17, v8, v56
	v_dot2_f32_f16 v57, v17, v9, v57
	v_dot2_f32_f16 v58, v17, v10, v58
	v_dot2_f32_f16 v59, v17, v11, v59
	v_dot2_f32_f16 v60, v18, v8, v60
	v_dot2_f32_f16 v61, v18, v9, v61
	v_dot2_f32_f16 v62, v18, v10, v62
	v_dot2_f32_f16 v63, v18, v11, v63
	v_dot2_f32_f16 v64, v19, v8, v64
	v_dot2_f32_f16 v65, v19, v9, v65
	v_dot2_f32_f16 v66, v19, v10, v66
	v_dot2_f32_f16 v67, v19, v11, v67
	ds_read_b128 v[8:11], v3 offset:20480
	v_dot2_f32_f16 v68, v16, v12, v68
	v_dot2_f32_f16 v69, v16, v13, v69
	;; [unrolled: 1-line block ×16, first 2 shown]
	ds_read_b128 v[12:15], v3 offset:20736
	ds_read_b128 v[16:19], v2 offset:4352
	s_waitcnt lgkmcnt(2)
	v_dot2_f32_f16 v20, v4, v8, v20
	v_dot2_f32_f16 v21, v4, v9, v21
	;; [unrolled: 1-line block ×16, first 2 shown]
	s_waitcnt lgkmcnt(1)
	v_dot2_f32_f16 v36, v4, v12, v36
	v_dot2_f32_f16 v37, v4, v13, v37
	;; [unrolled: 1-line block ×16, first 2 shown]
	ds_read_b128 v[4:7], v2 offset:4608
	s_waitcnt lgkmcnt(1)
	v_dot2_f32_f16 v52, v16, v8, v52
	v_dot2_f32_f16 v53, v16, v9, v53
	v_dot2_f32_f16 v54, v16, v10, v54
	v_dot2_f32_f16 v55, v16, v11, v55
	v_dot2_f32_f16 v56, v17, v8, v56
	v_dot2_f32_f16 v57, v17, v9, v57
	v_dot2_f32_f16 v58, v17, v10, v58
	v_dot2_f32_f16 v59, v17, v11, v59
	v_dot2_f32_f16 v60, v18, v8, v60
	v_dot2_f32_f16 v61, v18, v9, v61
	v_dot2_f32_f16 v62, v18, v10, v62
	v_dot2_f32_f16 v63, v18, v11, v63
	v_dot2_f32_f16 v64, v19, v8, v64
	v_dot2_f32_f16 v65, v19, v9, v65
	v_dot2_f32_f16 v66, v19, v10, v66
	v_dot2_f32_f16 v67, v19, v11, v67
	ds_read_b128 v[8:11], v3 offset:20992
	v_dot2_f32_f16 v68, v16, v12, v68
	v_dot2_f32_f16 v69, v16, v13, v69
	;; [unrolled: 1-line block ×16, first 2 shown]
	ds_read_b128 v[12:15], v3 offset:21248
	ds_read_b128 v[16:19], v2 offset:4864
	s_waitcnt lgkmcnt(2)
	v_dot2_f32_f16 v20, v4, v8, v20
	v_dot2_f32_f16 v21, v4, v9, v21
	v_dot2_f32_f16 v22, v4, v10, v22
	v_dot2_f32_f16 v23, v4, v11, v23
	v_dot2_f32_f16 v24, v5, v8, v24
	v_dot2_f32_f16 v25, v5, v9, v25
	v_dot2_f32_f16 v26, v5, v10, v26
	v_dot2_f32_f16 v27, v5, v11, v27
	v_dot2_f32_f16 v28, v6, v8, v28
	v_dot2_f32_f16 v29, v6, v9, v29
	v_dot2_f32_f16 v30, v6, v10, v30
	v_dot2_f32_f16 v31, v6, v11, v31
	v_dot2_f32_f16 v32, v7, v8, v32
	v_dot2_f32_f16 v33, v7, v9, v33
	v_dot2_f32_f16 v34, v7, v10, v34
	v_dot2_f32_f16 v35, v7, v11, v35
	s_waitcnt lgkmcnt(1)
	v_dot2_f32_f16 v36, v4, v12, v36
	v_dot2_f32_f16 v37, v4, v13, v37
	;; [unrolled: 1-line block ×16, first 2 shown]
	ds_read_b128 v[4:7], v2 offset:5120
	s_waitcnt lgkmcnt(1)
	v_dot2_f32_f16 v52, v16, v8, v52
	v_dot2_f32_f16 v53, v16, v9, v53
	;; [unrolled: 1-line block ×16, first 2 shown]
	ds_read_b128 v[8:11], v3 offset:21504
	v_dot2_f32_f16 v68, v16, v12, v68
	v_dot2_f32_f16 v69, v16, v13, v69
	;; [unrolled: 1-line block ×16, first 2 shown]
	ds_read_b128 v[12:15], v3 offset:21760
	ds_read_b128 v[16:19], v2 offset:5376
	s_waitcnt lgkmcnt(2)
	v_dot2_f32_f16 v20, v4, v8, v20
	v_dot2_f32_f16 v21, v4, v9, v21
	;; [unrolled: 1-line block ×16, first 2 shown]
	s_waitcnt lgkmcnt(1)
	v_dot2_f32_f16 v36, v4, v12, v36
	v_dot2_f32_f16 v37, v4, v13, v37
	;; [unrolled: 1-line block ×16, first 2 shown]
	ds_read_b128 v[4:7], v2 offset:5632
	s_waitcnt lgkmcnt(1)
	v_dot2_f32_f16 v52, v16, v8, v52
	v_dot2_f32_f16 v53, v16, v9, v53
	;; [unrolled: 1-line block ×16, first 2 shown]
	ds_read_b128 v[8:11], v3 offset:22016
	v_dot2_f32_f16 v68, v16, v12, v68
	v_dot2_f32_f16 v69, v16, v13, v69
	;; [unrolled: 1-line block ×16, first 2 shown]
	ds_read_b128 v[12:15], v3 offset:22272
	ds_read_b128 v[16:19], v2 offset:5888
	s_waitcnt lgkmcnt(2)
	v_dot2_f32_f16 v20, v4, v8, v20
	v_dot2_f32_f16 v21, v4, v9, v21
	;; [unrolled: 1-line block ×16, first 2 shown]
	s_waitcnt lgkmcnt(1)
	v_dot2_f32_f16 v36, v4, v12, v36
	v_dot2_f32_f16 v37, v4, v13, v37
	;; [unrolled: 1-line block ×16, first 2 shown]
	ds_read_b128 v[4:7], v2 offset:6144
	s_waitcnt lgkmcnt(1)
	v_dot2_f32_f16 v52, v16, v8, v52
	v_dot2_f32_f16 v53, v16, v9, v53
	;; [unrolled: 1-line block ×16, first 2 shown]
	ds_read_b128 v[8:11], v3 offset:22528
	v_dot2_f32_f16 v68, v16, v12, v68
	v_dot2_f32_f16 v69, v16, v13, v69
	;; [unrolled: 1-line block ×16, first 2 shown]
	ds_read_b128 v[12:15], v3 offset:22784
	ds_read_b128 v[16:19], v2 offset:6400
	s_waitcnt lgkmcnt(2)
	v_dot2_f32_f16 v20, v4, v8, v20
	v_dot2_f32_f16 v21, v4, v9, v21
	;; [unrolled: 1-line block ×16, first 2 shown]
	s_waitcnt lgkmcnt(1)
	v_dot2_f32_f16 v36, v4, v12, v36
	v_dot2_f32_f16 v37, v4, v13, v37
	;; [unrolled: 1-line block ×16, first 2 shown]
	ds_read_b128 v[4:7], v2 offset:6656
	s_waitcnt lgkmcnt(1)
	v_dot2_f32_f16 v52, v16, v8, v52
	v_dot2_f32_f16 v53, v16, v9, v53
	;; [unrolled: 1-line block ×16, first 2 shown]
	ds_read_b128 v[8:11], v3 offset:23040
	v_dot2_f32_f16 v68, v16, v12, v68
	v_dot2_f32_f16 v69, v16, v13, v69
	;; [unrolled: 1-line block ×16, first 2 shown]
	ds_read_b128 v[12:15], v3 offset:23296
	ds_read_b128 v[16:19], v2 offset:6912
	s_waitcnt lgkmcnt(2)
	v_dot2_f32_f16 v20, v4, v8, v20
	v_dot2_f32_f16 v21, v4, v9, v21
	v_dot2_f32_f16 v22, v4, v10, v22
	v_dot2_f32_f16 v23, v4, v11, v23
	v_dot2_f32_f16 v24, v5, v8, v24
	v_dot2_f32_f16 v25, v5, v9, v25
	v_dot2_f32_f16 v26, v5, v10, v26
	v_dot2_f32_f16 v27, v5, v11, v27
	v_dot2_f32_f16 v28, v6, v8, v28
	v_dot2_f32_f16 v29, v6, v9, v29
	v_dot2_f32_f16 v30, v6, v10, v30
	v_dot2_f32_f16 v31, v6, v11, v31
	v_dot2_f32_f16 v32, v7, v8, v32
	v_dot2_f32_f16 v33, v7, v9, v33
	v_dot2_f32_f16 v34, v7, v10, v34
	v_dot2_f32_f16 v35, v7, v11, v35
	s_waitcnt lgkmcnt(1)
	v_dot2_f32_f16 v36, v4, v12, v36
	v_dot2_f32_f16 v37, v4, v13, v37
	;; [unrolled: 1-line block ×16, first 2 shown]
	ds_read_b128 v[4:7], v2 offset:7168
	s_waitcnt lgkmcnt(1)
	v_dot2_f32_f16 v52, v16, v8, v52
	v_dot2_f32_f16 v53, v16, v9, v53
	;; [unrolled: 1-line block ×16, first 2 shown]
	ds_read_b128 v[8:11], v3 offset:23552
	v_dot2_f32_f16 v68, v16, v12, v68
	v_dot2_f32_f16 v69, v16, v13, v69
	;; [unrolled: 1-line block ×4, first 2 shown]
	s_waitcnt lgkmcnt(0)
	v_dot2_f32_f16 v84, v6, v11, v31
	v_or_b32_e32 v31, s11, v1
	v_dot2_f32_f16 v72, v17, v12, v72
	v_dot2_f32_f16 v73, v17, v13, v73
	v_dot2_f32_f16 v74, v17, v14, v74
	v_dot2_f32_f16 v75, v17, v15, v75
	v_dot2_f32_f16 v76, v18, v12, v76
	v_dot2_f32_f16 v77, v18, v13, v77
	v_dot2_f32_f16 v78, v18, v14, v78
	v_dot2_f32_f16 v79, v18, v15, v79
	v_dot2_f32_f16 v80, v19, v12, v80
	v_dot2_f32_f16 v81, v19, v13, v81
	v_dot2_f32_f16 v82, v19, v14, v82
	v_dot2_f32_f16 v83, v19, v15, v83
	ds_read_b128 v[12:15], v3 offset:23808
	ds_read_b128 v[16:19], v2 offset:7424
	v_mul_lo_u32 v1, v31, s34
	v_dot2_f32_f16 v85, v7, v10, v34
	v_add_u32_e32 v34, s18, v0
	v_dot2_f32_f16 v20, v4, v8, v20
	v_dot2_f32_f16 v21, v4, v9, v21
	;; [unrolled: 1-line block ×14, first 2 shown]
	s_waitcnt lgkmcnt(1)
	v_dot2_f32_f16 v86, v4, v12, v36
	v_dot2_f32_f16 v37, v4, v13, v37
	;; [unrolled: 1-line block ×16, first 2 shown]
	ds_read_b128 v[4:7], v2 offset:7680
	ds_read_b128 v[44:47], v3 offset:24064
	v_mad_u64_u32 v[0:1], s[0:1], v34, s35, v[1:2]
	s_lshl_b32 s18, s29, 1
	s_waitcnt lgkmcnt(2)
	v_dot2_f32_f16 v95, v16, v8, v52
	v_lshlrev_b32_e32 v1, 1, v0
	v_dot2_f32_f16 v96, v16, v9, v53
	v_dot2_f32_f16 v97, v16, v10, v54
	;; [unrolled: 1-line block ×7, first 2 shown]
	ds_read_b128 v[52:55], v3 offset:24320
	ds_read_b128 v[61:64], v2 offset:7936
	s_waitcnt lgkmcnt(2)
	v_dot2_f32_f16 v109, v4, v44, v20
	v_dot2_f32_f16 v110, v4, v45, v21
	buffer_load_dwordx2 v[20:21], v1, s[16:19], 0 offen
	v_dot2_f32_f16 v57, v17, v9, v57
	v_add_u32_e32 v2, s34, v0
	v_dot2_f32_f16 v111, v5, v44, v24
	v_dot2_f32_f16 v24, v5, v46, v26
	s_lshl_b32 s11, s35, 6
	v_dot2_f32_f16 v26, v7, v45, v33
	s_waitcnt lgkmcnt(1)
	v_dot2_f32_f16 v33, v5, v55, v43
	s_waitcnt lgkmcnt(0)
	v_dot2_f32_f16 v43, v62, v45, v57
	v_add_u32_e32 v57, s34, v2
	v_dot2_f32_f16 v68, v16, v12, v68
	v_dot2_f32_f16 v72, v17, v12, v72
	;; [unrolled: 1-line block ×4, first 2 shown]
	v_add_lshl_u32 v12, v57, s11, 1
	v_dot2_f32_f16 v58, v17, v10, v58
	v_dot2_f32_f16 v65, v19, v9, v65
	;; [unrolled: 1-line block ×9, first 2 shown]
	buffer_load_dwordx2 v[84:85], v12, s[16:19], 0 offen
	v_add_lshl_u32 v1, v0, s11, 1
	buffer_load_dwordx2 v[48:49], v1, s[16:19], 0 offen
	v_lshlrev_b32_e32 v0, 1, v2
	v_dot2_f32_f16 v103, v16, v14, v70
	v_dot2_f32_f16 v104, v16, v15, v71
	buffer_load_dwordx2 v[70:71], v0, s[16:19], 0 offen
	v_add_lshl_u32 v0, v2, s11, 1
	v_dot2_f32_f16 v105, v18, v13, v77
	v_dot2_f32_f16 v106, v18, v14, v78
	buffer_load_dwordx2 v[77:78], v0, s[16:19], 0 offen
	v_lshlrev_b32_e32 v2, 1, v57
	buffer_load_dwordx2 v[82:83], v2, s[16:19], 0 offen
	v_dot2_f32_f16 v60, v18, v8, v60
	v_dot2_f32_f16 v56, v17, v8, v56
	;; [unrolled: 1-line block ×17, first 2 shown]
	v_add_u32_e32 v45, s34, v57
	v_dot2_f32_f16 v41, v4, v47, v23
	v_dot2_f32_f16 v25, v5, v47, v27
	;; [unrolled: 1-line block ×11, first 2 shown]
	v_lshlrev_b32_e32 v47, 1, v45
	v_dot2_f32_f16 v114, v4, v52, v86
	buffer_load_dwordx2 v[86:87], v47, s[16:19], 0 offen
	v_dot2_f32_f16 v113, v6, v44, v28
	v_dot2_f32_f16 v115, v4, v53, v37
	v_dot2_f32_f16 v119, v6, v53, v90
	v_dot2_f32_f16 v28, v7, v53, v94
	v_dot2_f32_f16 v29, v61, v44, v95
	v_dot2_f32_f16 v42, v62, v44, v56
	v_dot2_f32_f16 v56, v64, v44, v102
	v_dot2_f32_f16 v14, v64, v46, v66
	v_dot2_f32_f16 v98, v61, v52, v68
	v_dot2_f32_f16 v37, v61, v53, v69
	v_dot2_f32_f16 v44, v62, v53, v73
	v_dot2_f32_f16 v66, v63, v53, v105
	v_dot2_f32_f16 v68, v64, v53, v81
	v_add_lshl_u32 v53, v45, s11, 1
	v_dot2_f32_f16 v118, v6, v52, v89
	buffer_load_dwordx2 v[88:89], v53, s[16:19], 0 offen
	v_cmp_gt_i32_e32 vcc, s27, v34
	v_cmp_gt_i32_e64 s[2:3], s25, v31
	s_and_b64 s[0:1], s[2:3], vcc
	s_waitcnt vmcnt(7)
	v_cndmask_b32_e64 v73, 0, v21, s[0:1]
	v_cndmask_b32_e64 v21, 0, v20, s[0:1]
	v_cvt_f32_f16_e32 v47, v21
	v_dot2_f32_f16 v40, v4, v46, v22
	v_dot2_f32_f16 v38, v4, v54, v38
	;; [unrolled: 1-line block ×10, first 2 shown]
	v_cvt_f32_f16_sdwa v52, v21 dst_sel:DWORD dst_unused:UNUSED_PAD src0_sel:WORD_1
	v_add_f32_e32 v47, v109, v47
	v_dot2_f32_f16 v7, v62, v55, v75
	v_max_f32_e32 v75, 0, v47
	v_add_f32_e32 v47, v110, v52
	v_add_u32_e32 v52, 64, v34
	v_cmp_gt_i32_e64 s[0:1], s27, v52
	s_and_b64 s[2:3], s[2:3], s[0:1]
	v_dot2_f32_f16 v12, v63, v54, v106
	v_dot2_f32_f16 v13, v63, v55, v79
	s_waitcnt vmcnt(5)
	v_cndmask_b32_e64 v63, 0, v49, s[2:3]
	v_cndmask_b32_e64 v49, 0, v48, s[2:3]
	v_cvt_f32_f16_e32 v53, v49
	v_max_f32_e32 v80, 0, v47
	v_mad_u64_u32 v[47:48], s[2:3], s34, 61, v[45:46]
	v_add_f32_e32 v45, v114, v53
	v_dot2_f32_f16 v22, v6, v54, v91
	v_dot2_f32_f16 v23, v6, v55, v92
	;; [unrolled: 1-line block ×3, first 2 shown]
	v_cvt_f32_f16_sdwa v53, v49 dst_sel:DWORD dst_unused:UNUSED_PAD src0_sel:WORD_1
	v_max_f32_e32 v74, 0, v45
	v_lshlrev_b32_e32 v45, 1, v47
	buffer_load_dwordx2 v[48:49], v45, s[16:19], 0 offen
	v_or_b32_e32 v59, 1, v31
	v_cmp_gt_i32_e64 s[2:3], s25, v59
	s_and_b64 s[4:5], s[2:3], vcc
	v_add_lshl_u32 v57, v47, s11, 1
	buffer_load_dwordx2 v[90:91], v57, s[16:19], 0 offen
	v_add_f32_e32 v45, v115, v53
	s_waitcnt vmcnt(6)
	v_cndmask_b32_e64 v53, 0, v70, s[4:5]
	v_dot2_f32_f16 v3, v61, v55, v104
	v_dot2_f32_f16 v21, v64, v55, v108
	v_cvt_f32_f16_e32 v55, v53
	v_max_f32_e32 v81, 0, v45
	s_and_b64 s[2:3], s[2:3], s[0:1]
	v_add_u32_e32 v47, s34, v47
	v_add_f32_e32 v45, v111, v55
	v_max_f32_e32 v62, 0, v45
	v_cvt_f32_f16_sdwa v45, v53 dst_sel:DWORD dst_unused:UNUSED_PAD src0_sel:WORD_1
	s_waitcnt vmcnt(5)
	v_cndmask_b32_e64 v53, 0, v77, s[2:3]
	v_cvt_f32_f16_e32 v55, v53
	v_lshlrev_b32_e32 v57, 1, v47
	buffer_load_dwordx2 v[92:93], v57, s[16:19], 0 offen
	v_add_f32_e32 v45, v112, v45
	v_max_f32_e32 v72, 0, v45
	v_add_f32_e32 v45, v116, v55
	v_cvt_f32_f16_sdwa v53, v53 dst_sel:DWORD dst_unused:UNUSED_PAD src0_sel:WORD_1
	v_or_b32_e32 v55, 2, v31
	v_cndmask_b32_e64 v76, 0, v78, s[2:3]
	v_cmp_gt_i32_e64 s[2:3], s25, v55
	v_add_lshl_u32 v57, v47, s11, 1
	v_dot2_f32_f16 v2, v61, v54, v103
	v_dot2_f32_f16 v20, v64, v54, v107
	v_cndmask_b32_e64 v54, 0, v71, s[4:5]
	buffer_load_dwordx2 v[94:95], v57, s[16:19], 0 offen
	s_and_b64 s[4:5], s[2:3], vcc
	s_waitcnt vmcnt(6)
	v_cndmask_b32_e64 v57, 0, v82, s[4:5]
	v_max_f32_e32 v99, 0, v45
	v_add_f32_e32 v45, v117, v53
	v_cvt_f32_f16_sdwa v53, v57 dst_sel:DWORD dst_unused:UNUSED_PAD src0_sel:WORD_1
	v_cvt_f32_f16_e32 v61, v57
	v_add_u32_e32 v47, s34, v47
	v_max_f32_e32 v100, 0, v45
	v_add_f32_e32 v36, v36, v53
	v_add_f32_e32 v45, v113, v61
	v_lshlrev_b32_e32 v57, 1, v47
	s_and_b64 s[2:3], s[2:3], s[0:1]
	v_max_f32_e32 v79, 0, v36
	v_add_lshl_u32 v36, v47, s11, 1
	v_cndmask_b32_e64 v67, 0, v83, s[4:5]
	buffer_load_dwordx2 v[96:97], v57, s[16:19], 0 offen
	v_max_f32_e32 v78, 0, v45
	v_cndmask_b32_e64 v45, 0, v84, s[2:3]
	buffer_load_dwordx2 v[83:84], v36, s[16:19], 0 offen
	v_or_b32_e32 v57, 3, v31
	v_cndmask_b32_e64 v65, 0, v85, s[2:3]
	v_cmp_gt_i32_e64 s[2:3], s25, v57
	v_add_u32_e32 v47, s34, v47
	s_and_b64 s[4:5], s[2:3], vcc
	v_lshlrev_b32_e32 v70, 1, v47
	v_cvt_f32_f16_e32 v53, v45
	s_waitcnt vmcnt(7)
	v_cndmask_b32_e64 v61, 0, v86, s[4:5]
	buffer_load_dwordx2 v[85:86], v70, s[16:19], 0 offen
	v_cvt_f32_f16_sdwa v45, v45 dst_sel:DWORD dst_unused:UNUSED_PAD src0_sel:WORD_1
	v_add_f32_e32 v36, v118, v53
	s_and_b64 s[2:3], s[2:3], s[0:1]
	v_add_lshl_u32 v47, v47, s11, 1
	v_cndmask_b32_e64 v53, 0, v87, s[4:5]
	v_max_f32_e32 v82, 0, v36
	v_add_f32_e32 v36, v119, v45
	s_waitcnt vmcnt(7)
	v_cndmask_b32_e64 v45, 0, v88, s[2:3]
	buffer_load_dwordx2 v[87:88], v47, s[16:19], 0 offen
	v_max_f32_e32 v101, 0, v36
	v_cvt_f32_f16_sdwa v36, v61 dst_sel:DWORD dst_unused:UNUSED_PAD src0_sel:WORD_1
	v_cvt_f32_f16_e32 v47, v45
	v_cndmask_b32_e64 v77, 0, v89, s[2:3]
	v_cvt_f32_f16_e32 v64, v61
	v_add_f32_e32 v26, v26, v36
	v_max_f32_e32 v71, 0, v26
	v_or_b32_e32 v26, 64, v31
	v_cmp_gt_i32_e64 s[2:3], s25, v26
	s_and_b64 s[4:5], s[2:3], vcc
	v_cvt_f32_f16_sdwa v36, v45 dst_sel:DWORD dst_unused:UNUSED_PAD src0_sel:WORD_1
	s_waitcnt vmcnt(7)
	v_cndmask_b32_e64 v45, 0, v48, s[4:5]
	v_add_f32_e32 v35, v35, v47
	v_cvt_f32_f16_e32 v47, v45
	v_add_f32_e32 v28, v28, v36
	v_max_f32_e32 v102, 0, v28
	s_and_b64 s[2:3], s[2:3], s[0:1]
	v_add_f32_e32 v28, v29, v47
	v_cvt_f32_f16_sdwa v29, v45 dst_sel:DWORD dst_unused:UNUSED_PAD src0_sel:WORD_1
	v_add_f32_e32 v27, v27, v64
	v_max_f32_e32 v89, 0, v35
	s_waitcnt vmcnt(6)
	v_cndmask_b32_e64 v35, 0, v91, s[2:3]
	v_add_f32_e32 v29, v30, v29
	v_or_b32_e32 v30, 0x41, v31
	v_cndmask_b32_e64 v36, 0, v90, s[2:3]
	v_cmp_gt_i32_e64 s[2:3], s25, v30
	v_max_f32_e32 v70, 0, v27
	v_cndmask_b32_e64 v27, 0, v49, s[4:5]
	s_and_b64 s[4:5], s[2:3], vcc
	v_cvt_f32_f16_e32 v45, v36
	v_cvt_f32_f16_sdwa v48, v36 dst_sel:DWORD dst_unused:UNUSED_PAD src0_sel:WORD_1
	s_waitcnt vmcnt(5)
	v_cndmask_b32_e64 v49, 0, v92, s[4:5]
	v_cvt_f32_f16_e32 v61, v49
	s_and_b64 s[2:3], s[2:3], s[0:1]
	v_add_f32_e32 v47, v98, v45
	v_add_f32_e32 v37, v37, v48
	v_cvt_f32_f16_sdwa v48, v49 dst_sel:DWORD dst_unused:UNUSED_PAD src0_sel:WORD_1
	v_max_f32_e32 v36, 0, v47
	v_add_f32_e32 v47, v42, v61
	v_cndmask_b32_e64 v45, 0, v93, s[4:5]
	v_add_f32_e32 v43, v43, v48
	v_max_f32_e32 v48, 0, v43
	s_waitcnt vmcnt(4)
	v_cndmask_b32_e64 v49, 0, v94, s[2:3]
	v_cvt_f32_f16_e32 v61, v49
	v_cndmask_b32_e64 v42, 0, v95, s[2:3]
	s_lshl_b32 s10, s10, 1
	s_mov_b32 s11, s15
	v_add_f32_e32 v43, v46, v61
	v_cvt_f32_f16_sdwa v61, v49 dst_sel:DWORD dst_unused:UNUSED_PAD src0_sel:WORD_1
	v_or_b32_e32 v46, 0x42, v31
	v_cmp_gt_i32_e64 s[2:3], s25, v46
	s_and_b64 s[4:5], s[2:3], vcc
	s_and_b64 s[2:3], s[2:3], s[0:1]
	v_add_f32_e32 v44, v44, v61
	v_max_f32_e32 v47, 0, v47
	v_max_f32_e32 v43, 0, v43
	v_max_f32_e32 v44, 0, v44
	v_max_f32_e32 v37, 0, v37
	s_waitcnt vmcnt(3)
	v_cndmask_b32_e64 v64, 0, v96, s[4:5]
	v_cvt_f32_f16_e32 v90, v64
	v_cvt_f32_f16_sdwa v64, v64 dst_sel:DWORD dst_unused:UNUSED_PAD src0_sel:WORD_1
	s_waitcnt vmcnt(2)
	v_cndmask_b32_e64 v83, 0, v83, s[2:3]
	v_cndmask_b32_e64 v61, 0, v84, s[2:3]
	v_cvt_f32_f16_e32 v84, v83
	v_add_f32_e32 v51, v51, v64
	v_cvt_f32_f16_sdwa v83, v83 dst_sel:DWORD dst_unused:UNUSED_PAD src0_sel:WORD_1
	v_cndmask_b32_e64 v49, 0, v97, s[4:5]
	v_add_f32_e32 v64, v58, v84
	v_or_b32_e32 v58, 0x43, v31
	v_cmp_gt_i32_e64 s[2:3], s25, v58
	s_and_b64 vcc, s[2:3], vcc
	s_waitcnt vmcnt(1)
	v_cndmask_b32_e32 v85, 0, v85, vcc
	v_cndmask_b32_e32 v84, 0, v86, vcc
	v_cvt_f32_f16_e32 v86, v85
	v_cvt_f32_f16_sdwa v85, v85 dst_sel:DWORD dst_unused:UNUSED_PAD src0_sel:WORD_1
	s_and_b64 vcc, s[2:3], s[0:1]
	v_add_f32_e32 v66, v66, v83
	v_add_f32_e32 v56, v56, v86
	;; [unrolled: 1-line block ×3, first 2 shown]
	s_waitcnt vmcnt(0)
	v_cndmask_b32_e32 v86, 0, v87, vcc
	v_cvt_f32_f16_e32 v87, v86
	v_cvt_f32_f16_sdwa v85, v86 dst_sel:DWORD dst_unused:UNUSED_PAD src0_sel:WORD_1
	v_max_f32_e32 v86, 0, v60
	v_max_f32_e32 v83, 0, v56
	v_add_f32_e32 v60, v69, v87
	v_max_f32_e32 v87, 0, v60
	v_add_f32_e32 v60, v68, v85
	v_cvt_f32_f16_sdwa v68, v73 dst_sel:DWORD dst_unused:UNUSED_PAD src0_sel:WORD_1
	v_cvt_f32_f16_e32 v69, v73
	v_max_f32_e32 v85, 0, v60
	v_mul_lo_u32 v60, v31, s6
	v_add_f32_e32 v41, v41, v68
	v_add_f32_e32 v40, v40, v69
	v_max_f32_e32 v40, 0, v40
	v_max_f32_e32 v41, 0, v41
	v_cvt_f16_f32_e32 v73, v75
	v_cvt_f16_f32_e32 v75, v80
	;; [unrolled: 1-line block ×4, first 2 shown]
	v_mad_u64_u32 v[40:41], s[0:1], v34, s7, v[60:61]
	v_cndmask_b32_e32 v56, 0, v88, vcc
	v_cmp_gt_i32_e32 vcc, s13, v34
	v_cmp_gt_i32_e64 s[2:3], s12, v31
	v_bfrev_b32_e32 v31, 1
	s_and_b64 s[0:1], s[2:3], vcc
	v_cndmask_b32_e64 v34, v31, 0, s[0:1]
	v_pack_b32_f16 v68, v73, v75
	v_pack_b32_f16 v69, v80, v69
	v_lshl_add_u32 v34, v40, 1, v34
	buffer_store_dwordx2 v[68:69], v34, s[8:11], 0 offen
	v_cvt_f32_f16_sdwa v34, v63 dst_sel:DWORD dst_unused:UNUSED_PAD src0_sel:WORD_1
	v_cvt_f32_f16_e32 v41, v63
	v_cvt_f16_f32_e32 v60, v74
	v_cvt_f16_f32_e32 v63, v81
	v_add_f32_e32 v34, v39, v34
	v_add_f32_e32 v38, v38, v41
	v_max_f32_e32 v38, 0, v38
	v_max_f32_e32 v34, 0, v34
	v_cvt_f16_f32_e32 v34, v34
	v_cvt_f16_f32_e32 v39, v38
	v_pack_b32_f16 v38, v60, v63
	v_cmp_gt_i32_e64 s[0:1], s13, v52
	v_cvt_f32_f16_sdwa v52, v76 dst_sel:DWORD dst_unused:UNUSED_PAD src0_sel:WORD_1
	v_cvt_f32_f16_e32 v60, v76
	s_lshl_b32 s4, s7, 6
	s_and_b64 s[2:3], s[2:3], s[0:1]
	v_add_u32_e32 v41, s4, v40
	v_pack_b32_f16 v39, v39, v34
	v_cndmask_b32_e64 v34, v31, 0, s[2:3]
	v_lshl_add_u32 v34, v41, 1, v34
	v_add_f32_e32 v33, v33, v52
	v_add_f32_e32 v32, v32, v60
	buffer_store_dwordx2 v[38:39], v34, s[8:11], 0 offen
	v_add_u32_e32 v34, s6, v41
	v_cvt_f32_f16_sdwa v39, v54 dst_sel:DWORD dst_unused:UNUSED_PAD src0_sel:WORD_1
	v_cvt_f32_f16_e32 v41, v54
	v_max_f32_e32 v32, 0, v32
	v_max_f32_e32 v33, 0, v33
	v_cvt_f16_f32_e32 v33, v33
	v_cvt_f16_f32_e32 v52, v32
	;; [unrolled: 1-line block ×4, first 2 shown]
	v_add_f32_e32 v25, v25, v39
	v_add_f32_e32 v24, v24, v41
	v_cmp_gt_i32_e64 s[2:3], s12, v59
	v_max_f32_e32 v24, 0, v24
	v_max_f32_e32 v25, 0, v25
	v_pack_b32_f16 v33, v52, v33
	s_and_b64 s[14:15], s[2:3], s[0:1]
	v_cvt_f16_f32_e32 v52, v62
	v_cvt_f16_f32_e32 v54, v72
	;; [unrolled: 1-line block ×4, first 2 shown]
	v_cndmask_b32_e64 v38, v31, 0, s[14:15]
	v_pack_b32_f16 v32, v63, v68
	v_lshl_add_u32 v38, v34, 1, v38
	s_and_b64 s[2:3], s[2:3], vcc
	buffer_store_dwordx2 v[32:33], v38, s[8:11], 0 offen
	v_add_u32_e32 v32, s6, v40
	v_cndmask_b32_e64 v33, v31, 0, s[2:3]
	v_cmp_gt_i32_e64 s[2:3], s12, v55
	v_pack_b32_f16 v24, v52, v54
	v_pack_b32_f16 v25, v39, v25
	v_lshl_add_u32 v33, v32, 1, v33
	s_and_b64 s[14:15], s[2:3], vcc
	v_cvt_f32_f16_sdwa v38, v67 dst_sel:DWORD dst_unused:UNUSED_PAD src0_sel:WORD_1
	v_cvt_f32_f16_e32 v39, v67
	buffer_store_dwordx2 v[24:25], v33, s[8:11], 0 offen
	v_add_u32_e32 v24, s6, v32
	v_cndmask_b32_e64 v25, v31, 0, s[14:15]
	v_lshl_add_u32 v24, v24, 1, v25
	v_cvt_f32_f16_sdwa v25, v65 dst_sel:DWORD dst_unused:UNUSED_PAD src0_sel:WORD_1
	v_cvt_f32_f16_e32 v32, v65
	v_add_f32_e32 v19, v19, v38
	v_add_f32_e32 v18, v18, v39
	v_max_f32_e32 v18, 0, v18
	v_max_f32_e32 v19, 0, v19
	v_add_f32_e32 v23, v23, v25
	v_add_f32_e32 v22, v22, v32
	v_cvt_f16_f32_e32 v40, v78
	v_cvt_f16_f32_e32 v41, v79
	;; [unrolled: 1-line block ×4, first 2 shown]
	v_max_f32_e32 v22, 0, v22
	v_max_f32_e32 v23, 0, v23
	v_cvt_f16_f32_e32 v23, v23
	v_cvt_f16_f32_e32 v22, v22
	v_pack_b32_f16 v18, v40, v41
	v_pack_b32_f16 v19, v38, v19
	buffer_store_dwordx2 v[18:19], v24, s[8:11], 0 offen
	v_pack_b32_f16 v19, v22, v23
	v_cvt_f32_f16_sdwa v23, v77 dst_sel:DWORD dst_unused:UNUSED_PAD src0_sel:WORD_1
	v_cvt_f32_f16_e32 v25, v77
	v_cvt_f16_f32_e32 v33, v82
	v_cvt_f16_f32_e32 v38, v101
	v_add_f32_e32 v17, v17, v23
	v_add_f32_e32 v16, v16, v25
	v_max_f32_e32 v16, 0, v16
	v_max_f32_e32 v17, 0, v17
	v_cvt_f16_f32_e32 v17, v17
	v_cvt_f16_f32_e32 v23, v16
	s_and_b64 s[2:3], s[2:3], s[0:1]
	v_add_u32_e32 v24, s6, v34
	v_cndmask_b32_e64 v22, v31, 0, s[2:3]
	v_pack_b32_f16 v18, v33, v38
	v_lshl_add_u32 v22, v24, 1, v22
	buffer_store_dwordx2 v[18:19], v22, s[8:11], 0 offen
	v_pack_b32_f16 v17, v23, v17
	v_cvt_f32_f16_sdwa v22, v53 dst_sel:DWORD dst_unused:UNUSED_PAD src0_sel:WORD_1
	v_cvt_f32_f16_e32 v23, v53
	v_cvt_f16_f32_e32 v32, v89
	v_cvt_f16_f32_e32 v33, v102
	v_add_f32_e32 v11, v11, v22
	v_add_f32_e32 v10, v10, v23
	v_cmp_gt_i32_e64 s[2:3], s12, v57
	v_max_f32_e32 v10, 0, v10
	v_max_f32_e32 v11, 0, v11
	v_pack_b32_f16 v16, v32, v33
	s_and_b64 s[14:15], s[2:3], s[0:1]
	v_cvt_f16_f32_e32 v25, v70
	v_cvt_f16_f32_e32 v32, v71
	;; [unrolled: 1-line block ×4, first 2 shown]
	v_add_u32_e32 v18, s6, v24
	v_cndmask_b32_e64 v19, v31, 0, s[14:15]
	v_lshl_add_u32 v19, v18, 1, v19
	s_and_b64 s[2:3], s[2:3], vcc
	buffer_store_dwordx2 v[16:17], v19, s[8:11], 0 offen
	v_subrev_u32_e32 v16, s4, v18
	v_cndmask_b32_e64 v17, v31, 0, s[2:3]
	v_pack_b32_f16 v10, v25, v32
	v_pack_b32_f16 v11, v22, v11
	v_lshl_add_u32 v17, v16, 1, v17
	buffer_store_dwordx2 v[10:11], v17, s[8:11], 0 offen
	v_cvt_f32_f16_sdwa v10, v84 dst_sel:DWORD dst_unused:UNUSED_PAD src0_sel:WORD_1
	v_cvt_f32_f16_e32 v11, v84
	v_cmp_gt_i32_e64 s[2:3], s12, v58
	s_lshl_b32 s5, s6, 6
	v_add_f32_e32 v10, v15, v10
	v_add_f32_e32 v11, v14, v11
	v_max_f32_e32 v11, 0, v11
	v_max_f32_e32 v10, 0, v10
	v_cvt_f16_f32_e32 v14, v10
	v_cvt_f16_f32_e32 v11, v11
	s_and_b64 s[14:15], s[2:3], vcc
	v_add_u32_e32 v15, s5, v16
	v_cvt_f32_f16_e32 v16, v56
	v_pack_b32_f16 v11, v11, v14
	v_cndmask_b32_e64 v14, v31, 0, s[14:15]
	v_lshl_add_u32 v14, v15, 1, v14
	v_cvt_f32_f16_sdwa v15, v56 dst_sel:DWORD dst_unused:UNUSED_PAD src0_sel:WORD_1
	v_add_f32_e32 v16, v20, v16
	v_cvt_f16_f32_e32 v17, v83
	v_cvt_f16_f32_e32 v19, v86
	v_add_f32_e32 v15, v21, v15
	v_max_f32_e32 v16, 0, v16
	v_max_f32_e32 v15, 0, v15
	v_cvt_f16_f32_e32 v15, v15
	v_cvt_f16_f32_e32 v16, v16
	v_pack_b32_f16 v10, v17, v19
	s_and_b64 s[2:3], s[2:3], s[0:1]
	buffer_store_dwordx2 v[10:11], v14, s[8:11], 0 offen
	v_add_u32_e32 v14, s5, v18
	v_pack_b32_f16 v11, v16, v15
	v_cndmask_b32_e64 v15, v31, 0, s[2:3]
	v_lshl_add_u32 v14, v14, 1, v15
	v_cvt_f32_f16_sdwa v15, v61 dst_sel:DWORD dst_unused:UNUSED_PAD src0_sel:WORD_1
	v_cvt_f32_f16_e32 v16, v61
	v_cvt_f16_f32_e32 v17, v87
	v_cvt_f16_f32_e32 v19, v85
	v_add_f32_e32 v13, v13, v15
	v_add_f32_e32 v12, v12, v16
	v_max_f32_e32 v12, 0, v12
	v_max_f32_e32 v13, 0, v13
	v_cvt_f16_f32_e32 v13, v13
	v_cvt_f16_f32_e32 v12, v12
	v_pack_b32_f16 v10, v17, v19
	buffer_store_dwordx2 v[10:11], v14, s[8:11], 0 offen
	v_cvt_f32_f16_e32 v15, v49
	v_pack_b32_f16 v11, v12, v13
	v_cvt_f32_f16_sdwa v13, v49 dst_sel:DWORD dst_unused:UNUSED_PAD src0_sel:WORD_1
	v_max_f32_e32 v64, 0, v64
	v_max_f32_e32 v66, 0, v66
	v_cvt_f16_f32_e32 v17, v64
	v_cvt_f16_f32_e32 v18, v66
	v_add_f32_e32 v50, v50, v90
	v_add_f32_e32 v9, v9, v13
	;; [unrolled: 1-line block ×3, first 2 shown]
	v_max_f32_e32 v50, 0, v50
	v_max_f32_e32 v51, 0, v51
	v_cmp_ge_i32_e64 s[2:3], s12, v58
	v_max_f32_e32 v8, 0, v8
	v_max_f32_e32 v9, 0, v9
	v_pack_b32_f16 v10, v17, v18
	s_and_b64 s[2:3], s[2:3], s[0:1]
	v_cvt_f16_f32_e32 v16, v50
	v_cvt_f16_f32_e32 v17, v51
	;; [unrolled: 1-line block ×4, first 2 shown]
	v_add_u32_e32 v14, s5, v24
	v_cndmask_b32_e64 v12, v31, 0, s[2:3]
	v_cmp_gt_i32_e64 s[2:3], s12, v46
	v_lshl_add_u32 v12, v14, 1, v12
	s_and_b64 s[2:3], s[2:3], vcc
	buffer_store_dwordx2 v[10:11], v12, s[8:11], 0 offen
	v_subrev_u32_e32 v10, s4, v14
	v_cndmask_b32_e64 v11, v31, 0, s[2:3]
	v_pack_b32_f16 v8, v16, v17
	v_pack_b32_f16 v9, v13, v9
	v_lshl_add_u32 v11, v10, 1, v11
	v_cvt_f32_f16_sdwa v12, v45 dst_sel:DWORD dst_unused:UNUSED_PAD src0_sel:WORD_1
	v_cvt_f32_f16_e32 v13, v45
	buffer_store_dwordx2 v[8:9], v11, s[8:11], 0 offen
	v_subrev_u32_e32 v8, s6, v10
	v_cvt_f32_f16_sdwa v10, v42 dst_sel:DWORD dst_unused:UNUSED_PAD src0_sel:WORD_1
	v_cvt_f32_f16_e32 v11, v42
	v_add_f32_e32 v5, v5, v12
	v_add_f32_e32 v4, v4, v13
	v_max_f32_e32 v4, 0, v4
	v_max_f32_e32 v5, 0, v5
	v_add_f32_e32 v7, v7, v10
	v_add_f32_e32 v6, v6, v11
	v_cvt_f16_f32_e32 v14, v47
	v_cvt_f16_f32_e32 v15, v48
	;; [unrolled: 1-line block ×4, first 2 shown]
	v_max_f32_e32 v6, 0, v6
	v_max_f32_e32 v7, 0, v7
	v_cmp_ge_i32_e64 s[2:3], s12, v46
	v_cvt_f16_f32_e32 v7, v7
	v_cvt_f16_f32_e32 v6, v6
	s_and_b64 s[2:3], s[2:3], vcc
	v_cndmask_b32_e64 v9, v31, 0, s[2:3]
	v_pack_b32_f16 v4, v14, v15
	v_pack_b32_f16 v5, v12, v5
	v_lshl_add_u32 v9, v8, 1, v9
	buffer_store_dwordx2 v[4:5], v9, s[8:11], 0 offen
	v_pack_b32_f16 v5, v6, v7
	v_cvt_f32_f16_sdwa v7, v35 dst_sel:DWORD dst_unused:UNUSED_PAD src0_sel:WORD_1
	v_cvt_f32_f16_e32 v9, v35
	v_cvt_f16_f32_e32 v12, v43
	v_cvt_f16_f32_e32 v13, v44
	v_add_f32_e32 v3, v3, v7
	v_add_f32_e32 v2, v2, v9
	v_max_f32_e32 v2, 0, v2
	v_max_f32_e32 v3, 0, v3
	v_cmp_gt_i32_e64 s[2:3], s12, v30
	v_cvt_f16_f32_e32 v3, v3
	v_cvt_f16_f32_e32 v7, v2
	s_and_b64 s[2:3], s[2:3], s[0:1]
	v_add_u32_e32 v8, s4, v8
	v_cndmask_b32_e64 v6, v31, 0, s[2:3]
	v_pack_b32_f16 v4, v12, v13
	v_lshl_add_u32 v6, v8, 1, v6
	buffer_store_dwordx2 v[4:5], v6, s[8:11], 0 offen
	v_pack_b32_f16 v3, v7, v3
	v_cvt_f32_f16_sdwa v6, v27 dst_sel:DWORD dst_unused:UNUSED_PAD src0_sel:WORD_1
	v_cvt_f32_f16_e32 v7, v27
	v_cvt_f16_f32_e32 v10, v36
	v_cvt_f16_f32_e32 v11, v37
	v_add_f32_e32 v1, v1, v6
	v_add_f32_e32 v0, v0, v7
	v_max_f32_e32 v28, 0, v28
	v_max_f32_e32 v29, 0, v29
	v_cmp_ge_i32_e64 s[2:3], s12, v30
	v_max_f32_e32 v0, 0, v0
	v_max_f32_e32 v1, 0, v1
	v_subrev_u32_e32 v4, s6, v8
	s_and_b64 s[0:1], s[2:3], s[0:1]
	v_cvt_f16_f32_e32 v8, v28
	v_cvt_f16_f32_e32 v9, v29
	;; [unrolled: 1-line block ×4, first 2 shown]
	v_cndmask_b32_e64 v5, v31, 0, s[0:1]
	v_cmp_gt_i32_e64 s[0:1], s12, v26
	v_pack_b32_f16 v2, v10, v11
	v_lshl_add_u32 v5, v4, 1, v5
	s_and_b64 s[0:1], s[0:1], vcc
	buffer_store_dwordx2 v[2:3], v5, s[8:11], 0 offen
	v_subrev_u32_e32 v2, s4, v4
	v_cndmask_b32_e64 v3, v31, 0, s[0:1]
	v_pack_b32_f16 v0, v8, v9
	v_pack_b32_f16 v1, v6, v1
	v_lshl_add_u32 v2, v2, 1, v3
	buffer_store_dwordx2 v[0:1], v2, s[8:11], 0 offen
	s_endpgm
	.section	.rodata,"a",@progbits
	.p2align	6, 0x0
	.amdhsa_kernel _ZN2ck16tensor_operation6device12_GLOBAL__N_137kernel_grouped_conv_fwd_dl_multiple_dINS_32GridwiseGemmDlMultipleD_km_kn_mnILi256EDF16_fNS_5TupleIJDF16_EEEDF16_NS0_12element_wise11PassThroughES8_NS7_7AddReluELNS_25InMemoryDataOperationEnumE0ENS_16TensorDescriptorINS5_IJNS_5EmbedINS5_IJiiiiEEESD_Lb0EEENS_11PassThroughIiEENS_3PadIiiiLb0EEESI_SG_SG_NSC_INS5_IJiiEEESJ_Lb0EEESK_SG_NS_23Merge_v2_magic_divisionINS5_IJiiiEEEEESN_NS_8RightPadIiiLb0EEESP_NS_7UnMergeISJ_Lb0EEESG_EEENS5_IJNS_8SequenceIJLi0EEEENST_IJLi1EEEENST_IJLi2EEEENST_IJLi3EEEENST_IJLi4EEEENST_IJLi5EEEENST_IJLi6EEEENST_IJLi7EEEENST_IJLi8EEEENST_IJLi9ELi11ELi13EEEENST_IJLi10ELi12ELi14EEEENST_IJLi15EEEENST_IJLi16EEEENST_IJLi18EEEENST_IJLi17EEEEEEENS5_IJNST_IJLi1ELi2ELi3ELi4EEEESZ_S10_S11_S12_NST_IJLi9EEEENST_IJLi10ELi11EEEENST_IJLi12ELi13EEEENST_IJLi14EEEES15_S16_S18_S17_NST_IJLi19ELi20EEEENST_IJLi21EEEEEEENST_IJLi19ELi21ELi20EEEElEENSB_INS5_IJSR_SP_SP_SR_SG_EEENS5_IJSU_SV_SW_SY_SX_EEENS5_IJNST_IJLi1ELi2EEEESX_SY_NST_IJLi5ELi6EEEES11_EEENST_IJLi5ELi7ELi6EEEElEENSB_INS5_IJSK_SP_SP_EEENS5_IJSU_SV_SW_EEENS5_IJS1M_SX_SY_EEENST_IJLi3ELi4EEEElEELi128ELi128ELi16ELi2ELi4ELi4ELi1ENST_IJLi8ELi2EEEES1W_NST_IJLi8ELi1ELi1ELi2EEEENST_IJLi2ELi1ELi128ELi1EEEENST_IJLi1ELi2ELi0ELi3EEEES1Z_NST_IJLi4ELi1ELi1ELi2EEEES1Z_NST_IJLi1ELi1ELi1ELi2EEEES1X_S1Y_S1Z_S1Z_S20_S1Z_S21_NST_IJLi0ELi1ELi2ELi3ELi4ELi5EEEELi5ELi4EEEDF16_NS5_IJPKDF16_EEEDF16_S8_S8_S9_NSB_INS5_IJSE_SG_SI_SI_SG_SG_SK_SK_SG_SN_SN_SP_SP_SR_SG_SG_NSQ_INS5_IJiNS_17integral_constantIiLi128EEEEEELb0EEENSF_INS27_IiLi2EEEEEEEENS5_IJSU_SV_SW_SX_SY_SZ_S10_S11_S12_S13_S14_S15_S16_S17_S18_NST_IJLi19EEEES1G_NST_IJLi20EEEEEEENS5_IJS1A_SZ_S10_S11_S12_S1B_S1C_S1D_S1E_S15_S16_S18_S17_S1F_S1G_NST_IJLi22EEEENST_IJLi23ELi24EEEENST_IJLi25EEEEEEENST_IJLi22ELi23ELi24ELi25EEEElEENSB_INS5_IJSR_SP_SP_SR_SG_SG_S2A_S2C_EEENS5_IJSU_SV_SW_SY_SX_SZ_S11_S10_EEENS5_IJS1M_SX_SY_S1N_S11_S12_NST_IJLi9ELi10EEEENST_IJLi11EEEEEEENST_IJLi8ELi9ELi10ELi11EEEElEENS5_IJNSB_INS5_IJSK_SP_SP_NSQ_INS5_IJiS2B_NS27_IiLi64EEEEEELb0EEES2W_EEENS5_IJSU_SV_SW_SX_SY_EEENS5_IJS1M_SX_SY_NST_IJLi5ELi6ELi7EEEENST_IJLi8ELi9ELi10EEEEEEENST_IJLi5ELi6ELi7ELi8ELi9ELi10EEEElEEEEES33_NS_31BlockToCTileMap_M00_N00_M01_N01ILi128ELi128ES1V_Lb0EEENS1_30ComputePtrOffsetOfStridedBatchILi1ELi1ELi1EvEELb0ELb0EEEvPKT0_S3B_T1_PT2_T3_T4_T5_iT6_T7_T8_T9_T10_T11_
		.amdhsa_group_segment_fixed_size 32768
		.amdhsa_private_segment_fixed_size 0
		.amdhsa_kernarg_size 968
		.amdhsa_user_sgpr_count 6
		.amdhsa_user_sgpr_private_segment_buffer 1
		.amdhsa_user_sgpr_dispatch_ptr 0
		.amdhsa_user_sgpr_queue_ptr 0
		.amdhsa_user_sgpr_kernarg_segment_ptr 1
		.amdhsa_user_sgpr_dispatch_id 0
		.amdhsa_user_sgpr_flat_scratch_init 0
		.amdhsa_user_sgpr_private_segment_size 0
		.amdhsa_uses_dynamic_stack 0
		.amdhsa_system_sgpr_private_segment_wavefront_offset 0
		.amdhsa_system_sgpr_workgroup_id_x 1
		.amdhsa_system_sgpr_workgroup_id_y 0
		.amdhsa_system_sgpr_workgroup_id_z 0
		.amdhsa_system_sgpr_workgroup_info 0
		.amdhsa_system_vgpr_workitem_id 0
		.amdhsa_next_free_vgpr 120
		.amdhsa_next_free_sgpr 98
		.amdhsa_reserve_vcc 1
		.amdhsa_reserve_flat_scratch 0
		.amdhsa_float_round_mode_32 0
		.amdhsa_float_round_mode_16_64 0
		.amdhsa_float_denorm_mode_32 3
		.amdhsa_float_denorm_mode_16_64 3
		.amdhsa_dx10_clamp 1
		.amdhsa_ieee_mode 1
		.amdhsa_fp16_overflow 0
		.amdhsa_exception_fp_ieee_invalid_op 0
		.amdhsa_exception_fp_denorm_src 0
		.amdhsa_exception_fp_ieee_div_zero 0
		.amdhsa_exception_fp_ieee_overflow 0
		.amdhsa_exception_fp_ieee_underflow 0
		.amdhsa_exception_fp_ieee_inexact 0
		.amdhsa_exception_int_div_zero 0
	.end_amdhsa_kernel
	.section	.text._ZN2ck16tensor_operation6device12_GLOBAL__N_137kernel_grouped_conv_fwd_dl_multiple_dINS_32GridwiseGemmDlMultipleD_km_kn_mnILi256EDF16_fNS_5TupleIJDF16_EEEDF16_NS0_12element_wise11PassThroughES8_NS7_7AddReluELNS_25InMemoryDataOperationEnumE0ENS_16TensorDescriptorINS5_IJNS_5EmbedINS5_IJiiiiEEESD_Lb0EEENS_11PassThroughIiEENS_3PadIiiiLb0EEESI_SG_SG_NSC_INS5_IJiiEEESJ_Lb0EEESK_SG_NS_23Merge_v2_magic_divisionINS5_IJiiiEEEEESN_NS_8RightPadIiiLb0EEESP_NS_7UnMergeISJ_Lb0EEESG_EEENS5_IJNS_8SequenceIJLi0EEEENST_IJLi1EEEENST_IJLi2EEEENST_IJLi3EEEENST_IJLi4EEEENST_IJLi5EEEENST_IJLi6EEEENST_IJLi7EEEENST_IJLi8EEEENST_IJLi9ELi11ELi13EEEENST_IJLi10ELi12ELi14EEEENST_IJLi15EEEENST_IJLi16EEEENST_IJLi18EEEENST_IJLi17EEEEEEENS5_IJNST_IJLi1ELi2ELi3ELi4EEEESZ_S10_S11_S12_NST_IJLi9EEEENST_IJLi10ELi11EEEENST_IJLi12ELi13EEEENST_IJLi14EEEES15_S16_S18_S17_NST_IJLi19ELi20EEEENST_IJLi21EEEEEEENST_IJLi19ELi21ELi20EEEElEENSB_INS5_IJSR_SP_SP_SR_SG_EEENS5_IJSU_SV_SW_SY_SX_EEENS5_IJNST_IJLi1ELi2EEEESX_SY_NST_IJLi5ELi6EEEES11_EEENST_IJLi5ELi7ELi6EEEElEENSB_INS5_IJSK_SP_SP_EEENS5_IJSU_SV_SW_EEENS5_IJS1M_SX_SY_EEENST_IJLi3ELi4EEEElEELi128ELi128ELi16ELi2ELi4ELi4ELi1ENST_IJLi8ELi2EEEES1W_NST_IJLi8ELi1ELi1ELi2EEEENST_IJLi2ELi1ELi128ELi1EEEENST_IJLi1ELi2ELi0ELi3EEEES1Z_NST_IJLi4ELi1ELi1ELi2EEEES1Z_NST_IJLi1ELi1ELi1ELi2EEEES1X_S1Y_S1Z_S1Z_S20_S1Z_S21_NST_IJLi0ELi1ELi2ELi3ELi4ELi5EEEELi5ELi4EEEDF16_NS5_IJPKDF16_EEEDF16_S8_S8_S9_NSB_INS5_IJSE_SG_SI_SI_SG_SG_SK_SK_SG_SN_SN_SP_SP_SR_SG_SG_NSQ_INS5_IJiNS_17integral_constantIiLi128EEEEEELb0EEENSF_INS27_IiLi2EEEEEEEENS5_IJSU_SV_SW_SX_SY_SZ_S10_S11_S12_S13_S14_S15_S16_S17_S18_NST_IJLi19EEEES1G_NST_IJLi20EEEEEEENS5_IJS1A_SZ_S10_S11_S12_S1B_S1C_S1D_S1E_S15_S16_S18_S17_S1F_S1G_NST_IJLi22EEEENST_IJLi23ELi24EEEENST_IJLi25EEEEEEENST_IJLi22ELi23ELi24ELi25EEEElEENSB_INS5_IJSR_SP_SP_SR_SG_SG_S2A_S2C_EEENS5_IJSU_SV_SW_SY_SX_SZ_S11_S10_EEENS5_IJS1M_SX_SY_S1N_S11_S12_NST_IJLi9ELi10EEEENST_IJLi11EEEEEEENST_IJLi8ELi9ELi10ELi11EEEElEENS5_IJNSB_INS5_IJSK_SP_SP_NSQ_INS5_IJiS2B_NS27_IiLi64EEEEEELb0EEES2W_EEENS5_IJSU_SV_SW_SX_SY_EEENS5_IJS1M_SX_SY_NST_IJLi5ELi6ELi7EEEENST_IJLi8ELi9ELi10EEEEEEENST_IJLi5ELi6ELi7ELi8ELi9ELi10EEEElEEEEES33_NS_31BlockToCTileMap_M00_N00_M01_N01ILi128ELi128ES1V_Lb0EEENS1_30ComputePtrOffsetOfStridedBatchILi1ELi1ELi1EvEELb0ELb0EEEvPKT0_S3B_T1_PT2_T3_T4_T5_iT6_T7_T8_T9_T10_T11_,"axG",@progbits,_ZN2ck16tensor_operation6device12_GLOBAL__N_137kernel_grouped_conv_fwd_dl_multiple_dINS_32GridwiseGemmDlMultipleD_km_kn_mnILi256EDF16_fNS_5TupleIJDF16_EEEDF16_NS0_12element_wise11PassThroughES8_NS7_7AddReluELNS_25InMemoryDataOperationEnumE0ENS_16TensorDescriptorINS5_IJNS_5EmbedINS5_IJiiiiEEESD_Lb0EEENS_11PassThroughIiEENS_3PadIiiiLb0EEESI_SG_SG_NSC_INS5_IJiiEEESJ_Lb0EEESK_SG_NS_23Merge_v2_magic_divisionINS5_IJiiiEEEEESN_NS_8RightPadIiiLb0EEESP_NS_7UnMergeISJ_Lb0EEESG_EEENS5_IJNS_8SequenceIJLi0EEEENST_IJLi1EEEENST_IJLi2EEEENST_IJLi3EEEENST_IJLi4EEEENST_IJLi5EEEENST_IJLi6EEEENST_IJLi7EEEENST_IJLi8EEEENST_IJLi9ELi11ELi13EEEENST_IJLi10ELi12ELi14EEEENST_IJLi15EEEENST_IJLi16EEEENST_IJLi18EEEENST_IJLi17EEEEEEENS5_IJNST_IJLi1ELi2ELi3ELi4EEEESZ_S10_S11_S12_NST_IJLi9EEEENST_IJLi10ELi11EEEENST_IJLi12ELi13EEEENST_IJLi14EEEES15_S16_S18_S17_NST_IJLi19ELi20EEEENST_IJLi21EEEEEEENST_IJLi19ELi21ELi20EEEElEENSB_INS5_IJSR_SP_SP_SR_SG_EEENS5_IJSU_SV_SW_SY_SX_EEENS5_IJNST_IJLi1ELi2EEEESX_SY_NST_IJLi5ELi6EEEES11_EEENST_IJLi5ELi7ELi6EEEElEENSB_INS5_IJSK_SP_SP_EEENS5_IJSU_SV_SW_EEENS5_IJS1M_SX_SY_EEENST_IJLi3ELi4EEEElEELi128ELi128ELi16ELi2ELi4ELi4ELi1ENST_IJLi8ELi2EEEES1W_NST_IJLi8ELi1ELi1ELi2EEEENST_IJLi2ELi1ELi128ELi1EEEENST_IJLi1ELi2ELi0ELi3EEEES1Z_NST_IJLi4ELi1ELi1ELi2EEEES1Z_NST_IJLi1ELi1ELi1ELi2EEEES1X_S1Y_S1Z_S1Z_S20_S1Z_S21_NST_IJLi0ELi1ELi2ELi3ELi4ELi5EEEELi5ELi4EEEDF16_NS5_IJPKDF16_EEEDF16_S8_S8_S9_NSB_INS5_IJSE_SG_SI_SI_SG_SG_SK_SK_SG_SN_SN_SP_SP_SR_SG_SG_NSQ_INS5_IJiNS_17integral_constantIiLi128EEEEEELb0EEENSF_INS27_IiLi2EEEEEEEENS5_IJSU_SV_SW_SX_SY_SZ_S10_S11_S12_S13_S14_S15_S16_S17_S18_NST_IJLi19EEEES1G_NST_IJLi20EEEEEEENS5_IJS1A_SZ_S10_S11_S12_S1B_S1C_S1D_S1E_S15_S16_S18_S17_S1F_S1G_NST_IJLi22EEEENST_IJLi23ELi24EEEENST_IJLi25EEEEEEENST_IJLi22ELi23ELi24ELi25EEEElEENSB_INS5_IJSR_SP_SP_SR_SG_SG_S2A_S2C_EEENS5_IJSU_SV_SW_SY_SX_SZ_S11_S10_EEENS5_IJS1M_SX_SY_S1N_S11_S12_NST_IJLi9ELi10EEEENST_IJLi11EEEEEEENST_IJLi8ELi9ELi10ELi11EEEElEENS5_IJNSB_INS5_IJSK_SP_SP_NSQ_INS5_IJiS2B_NS27_IiLi64EEEEEELb0EEES2W_EEENS5_IJSU_SV_SW_SX_SY_EEENS5_IJS1M_SX_SY_NST_IJLi5ELi6ELi7EEEENST_IJLi8ELi9ELi10EEEEEEENST_IJLi5ELi6ELi7ELi8ELi9ELi10EEEElEEEEES33_NS_31BlockToCTileMap_M00_N00_M01_N01ILi128ELi128ES1V_Lb0EEENS1_30ComputePtrOffsetOfStridedBatchILi1ELi1ELi1EvEELb0ELb0EEEvPKT0_S3B_T1_PT2_T3_T4_T5_iT6_T7_T8_T9_T10_T11_,comdat
.Lfunc_end8:
	.size	_ZN2ck16tensor_operation6device12_GLOBAL__N_137kernel_grouped_conv_fwd_dl_multiple_dINS_32GridwiseGemmDlMultipleD_km_kn_mnILi256EDF16_fNS_5TupleIJDF16_EEEDF16_NS0_12element_wise11PassThroughES8_NS7_7AddReluELNS_25InMemoryDataOperationEnumE0ENS_16TensorDescriptorINS5_IJNS_5EmbedINS5_IJiiiiEEESD_Lb0EEENS_11PassThroughIiEENS_3PadIiiiLb0EEESI_SG_SG_NSC_INS5_IJiiEEESJ_Lb0EEESK_SG_NS_23Merge_v2_magic_divisionINS5_IJiiiEEEEESN_NS_8RightPadIiiLb0EEESP_NS_7UnMergeISJ_Lb0EEESG_EEENS5_IJNS_8SequenceIJLi0EEEENST_IJLi1EEEENST_IJLi2EEEENST_IJLi3EEEENST_IJLi4EEEENST_IJLi5EEEENST_IJLi6EEEENST_IJLi7EEEENST_IJLi8EEEENST_IJLi9ELi11ELi13EEEENST_IJLi10ELi12ELi14EEEENST_IJLi15EEEENST_IJLi16EEEENST_IJLi18EEEENST_IJLi17EEEEEEENS5_IJNST_IJLi1ELi2ELi3ELi4EEEESZ_S10_S11_S12_NST_IJLi9EEEENST_IJLi10ELi11EEEENST_IJLi12ELi13EEEENST_IJLi14EEEES15_S16_S18_S17_NST_IJLi19ELi20EEEENST_IJLi21EEEEEEENST_IJLi19ELi21ELi20EEEElEENSB_INS5_IJSR_SP_SP_SR_SG_EEENS5_IJSU_SV_SW_SY_SX_EEENS5_IJNST_IJLi1ELi2EEEESX_SY_NST_IJLi5ELi6EEEES11_EEENST_IJLi5ELi7ELi6EEEElEENSB_INS5_IJSK_SP_SP_EEENS5_IJSU_SV_SW_EEENS5_IJS1M_SX_SY_EEENST_IJLi3ELi4EEEElEELi128ELi128ELi16ELi2ELi4ELi4ELi1ENST_IJLi8ELi2EEEES1W_NST_IJLi8ELi1ELi1ELi2EEEENST_IJLi2ELi1ELi128ELi1EEEENST_IJLi1ELi2ELi0ELi3EEEES1Z_NST_IJLi4ELi1ELi1ELi2EEEES1Z_NST_IJLi1ELi1ELi1ELi2EEEES1X_S1Y_S1Z_S1Z_S20_S1Z_S21_NST_IJLi0ELi1ELi2ELi3ELi4ELi5EEEELi5ELi4EEEDF16_NS5_IJPKDF16_EEEDF16_S8_S8_S9_NSB_INS5_IJSE_SG_SI_SI_SG_SG_SK_SK_SG_SN_SN_SP_SP_SR_SG_SG_NSQ_INS5_IJiNS_17integral_constantIiLi128EEEEEELb0EEENSF_INS27_IiLi2EEEEEEEENS5_IJSU_SV_SW_SX_SY_SZ_S10_S11_S12_S13_S14_S15_S16_S17_S18_NST_IJLi19EEEES1G_NST_IJLi20EEEEEEENS5_IJS1A_SZ_S10_S11_S12_S1B_S1C_S1D_S1E_S15_S16_S18_S17_S1F_S1G_NST_IJLi22EEEENST_IJLi23ELi24EEEENST_IJLi25EEEEEEENST_IJLi22ELi23ELi24ELi25EEEElEENSB_INS5_IJSR_SP_SP_SR_SG_SG_S2A_S2C_EEENS5_IJSU_SV_SW_SY_SX_SZ_S11_S10_EEENS5_IJS1M_SX_SY_S1N_S11_S12_NST_IJLi9ELi10EEEENST_IJLi11EEEEEEENST_IJLi8ELi9ELi10ELi11EEEElEENS5_IJNSB_INS5_IJSK_SP_SP_NSQ_INS5_IJiS2B_NS27_IiLi64EEEEEELb0EEES2W_EEENS5_IJSU_SV_SW_SX_SY_EEENS5_IJS1M_SX_SY_NST_IJLi5ELi6ELi7EEEENST_IJLi8ELi9ELi10EEEEEEENST_IJLi5ELi6ELi7ELi8ELi9ELi10EEEElEEEEES33_NS_31BlockToCTileMap_M00_N00_M01_N01ILi128ELi128ES1V_Lb0EEENS1_30ComputePtrOffsetOfStridedBatchILi1ELi1ELi1EvEELb0ELb0EEEvPKT0_S3B_T1_PT2_T3_T4_T5_iT6_T7_T8_T9_T10_T11_, .Lfunc_end8-_ZN2ck16tensor_operation6device12_GLOBAL__N_137kernel_grouped_conv_fwd_dl_multiple_dINS_32GridwiseGemmDlMultipleD_km_kn_mnILi256EDF16_fNS_5TupleIJDF16_EEEDF16_NS0_12element_wise11PassThroughES8_NS7_7AddReluELNS_25InMemoryDataOperationEnumE0ENS_16TensorDescriptorINS5_IJNS_5EmbedINS5_IJiiiiEEESD_Lb0EEENS_11PassThroughIiEENS_3PadIiiiLb0EEESI_SG_SG_NSC_INS5_IJiiEEESJ_Lb0EEESK_SG_NS_23Merge_v2_magic_divisionINS5_IJiiiEEEEESN_NS_8RightPadIiiLb0EEESP_NS_7UnMergeISJ_Lb0EEESG_EEENS5_IJNS_8SequenceIJLi0EEEENST_IJLi1EEEENST_IJLi2EEEENST_IJLi3EEEENST_IJLi4EEEENST_IJLi5EEEENST_IJLi6EEEENST_IJLi7EEEENST_IJLi8EEEENST_IJLi9ELi11ELi13EEEENST_IJLi10ELi12ELi14EEEENST_IJLi15EEEENST_IJLi16EEEENST_IJLi18EEEENST_IJLi17EEEEEEENS5_IJNST_IJLi1ELi2ELi3ELi4EEEESZ_S10_S11_S12_NST_IJLi9EEEENST_IJLi10ELi11EEEENST_IJLi12ELi13EEEENST_IJLi14EEEES15_S16_S18_S17_NST_IJLi19ELi20EEEENST_IJLi21EEEEEEENST_IJLi19ELi21ELi20EEEElEENSB_INS5_IJSR_SP_SP_SR_SG_EEENS5_IJSU_SV_SW_SY_SX_EEENS5_IJNST_IJLi1ELi2EEEESX_SY_NST_IJLi5ELi6EEEES11_EEENST_IJLi5ELi7ELi6EEEElEENSB_INS5_IJSK_SP_SP_EEENS5_IJSU_SV_SW_EEENS5_IJS1M_SX_SY_EEENST_IJLi3ELi4EEEElEELi128ELi128ELi16ELi2ELi4ELi4ELi1ENST_IJLi8ELi2EEEES1W_NST_IJLi8ELi1ELi1ELi2EEEENST_IJLi2ELi1ELi128ELi1EEEENST_IJLi1ELi2ELi0ELi3EEEES1Z_NST_IJLi4ELi1ELi1ELi2EEEES1Z_NST_IJLi1ELi1ELi1ELi2EEEES1X_S1Y_S1Z_S1Z_S20_S1Z_S21_NST_IJLi0ELi1ELi2ELi3ELi4ELi5EEEELi5ELi4EEEDF16_NS5_IJPKDF16_EEEDF16_S8_S8_S9_NSB_INS5_IJSE_SG_SI_SI_SG_SG_SK_SK_SG_SN_SN_SP_SP_SR_SG_SG_NSQ_INS5_IJiNS_17integral_constantIiLi128EEEEEELb0EEENSF_INS27_IiLi2EEEEEEEENS5_IJSU_SV_SW_SX_SY_SZ_S10_S11_S12_S13_S14_S15_S16_S17_S18_NST_IJLi19EEEES1G_NST_IJLi20EEEEEEENS5_IJS1A_SZ_S10_S11_S12_S1B_S1C_S1D_S1E_S15_S16_S18_S17_S1F_S1G_NST_IJLi22EEEENST_IJLi23ELi24EEEENST_IJLi25EEEEEEENST_IJLi22ELi23ELi24ELi25EEEElEENSB_INS5_IJSR_SP_SP_SR_SG_SG_S2A_S2C_EEENS5_IJSU_SV_SW_SY_SX_SZ_S11_S10_EEENS5_IJS1M_SX_SY_S1N_S11_S12_NST_IJLi9ELi10EEEENST_IJLi11EEEEEEENST_IJLi8ELi9ELi10ELi11EEEElEENS5_IJNSB_INS5_IJSK_SP_SP_NSQ_INS5_IJiS2B_NS27_IiLi64EEEEEELb0EEES2W_EEENS5_IJSU_SV_SW_SX_SY_EEENS5_IJS1M_SX_SY_NST_IJLi5ELi6ELi7EEEENST_IJLi8ELi9ELi10EEEEEEENST_IJLi5ELi6ELi7ELi8ELi9ELi10EEEElEEEEES33_NS_31BlockToCTileMap_M00_N00_M01_N01ILi128ELi128ES1V_Lb0EEENS1_30ComputePtrOffsetOfStridedBatchILi1ELi1ELi1EvEELb0ELb0EEEvPKT0_S3B_T1_PT2_T3_T4_T5_iT6_T7_T8_T9_T10_T11_
                                        ; -- End function
	.set _ZN2ck16tensor_operation6device12_GLOBAL__N_137kernel_grouped_conv_fwd_dl_multiple_dINS_32GridwiseGemmDlMultipleD_km_kn_mnILi256EDF16_fNS_5TupleIJDF16_EEEDF16_NS0_12element_wise11PassThroughES8_NS7_7AddReluELNS_25InMemoryDataOperationEnumE0ENS_16TensorDescriptorINS5_IJNS_5EmbedINS5_IJiiiiEEESD_Lb0EEENS_11PassThroughIiEENS_3PadIiiiLb0EEESI_SG_SG_NSC_INS5_IJiiEEESJ_Lb0EEESK_SG_NS_23Merge_v2_magic_divisionINS5_IJiiiEEEEESN_NS_8RightPadIiiLb0EEESP_NS_7UnMergeISJ_Lb0EEESG_EEENS5_IJNS_8SequenceIJLi0EEEENST_IJLi1EEEENST_IJLi2EEEENST_IJLi3EEEENST_IJLi4EEEENST_IJLi5EEEENST_IJLi6EEEENST_IJLi7EEEENST_IJLi8EEEENST_IJLi9ELi11ELi13EEEENST_IJLi10ELi12ELi14EEEENST_IJLi15EEEENST_IJLi16EEEENST_IJLi18EEEENST_IJLi17EEEEEEENS5_IJNST_IJLi1ELi2ELi3ELi4EEEESZ_S10_S11_S12_NST_IJLi9EEEENST_IJLi10ELi11EEEENST_IJLi12ELi13EEEENST_IJLi14EEEES15_S16_S18_S17_NST_IJLi19ELi20EEEENST_IJLi21EEEEEEENST_IJLi19ELi21ELi20EEEElEENSB_INS5_IJSR_SP_SP_SR_SG_EEENS5_IJSU_SV_SW_SY_SX_EEENS5_IJNST_IJLi1ELi2EEEESX_SY_NST_IJLi5ELi6EEEES11_EEENST_IJLi5ELi7ELi6EEEElEENSB_INS5_IJSK_SP_SP_EEENS5_IJSU_SV_SW_EEENS5_IJS1M_SX_SY_EEENST_IJLi3ELi4EEEElEELi128ELi128ELi16ELi2ELi4ELi4ELi1ENST_IJLi8ELi2EEEES1W_NST_IJLi8ELi1ELi1ELi2EEEENST_IJLi2ELi1ELi128ELi1EEEENST_IJLi1ELi2ELi0ELi3EEEES1Z_NST_IJLi4ELi1ELi1ELi2EEEES1Z_NST_IJLi1ELi1ELi1ELi2EEEES1X_S1Y_S1Z_S1Z_S20_S1Z_S21_NST_IJLi0ELi1ELi2ELi3ELi4ELi5EEEELi5ELi4EEEDF16_NS5_IJPKDF16_EEEDF16_S8_S8_S9_NSB_INS5_IJSE_SG_SI_SI_SG_SG_SK_SK_SG_SN_SN_SP_SP_SR_SG_SG_NSQ_INS5_IJiNS_17integral_constantIiLi128EEEEEELb0EEENSF_INS27_IiLi2EEEEEEEENS5_IJSU_SV_SW_SX_SY_SZ_S10_S11_S12_S13_S14_S15_S16_S17_S18_NST_IJLi19EEEES1G_NST_IJLi20EEEEEEENS5_IJS1A_SZ_S10_S11_S12_S1B_S1C_S1D_S1E_S15_S16_S18_S17_S1F_S1G_NST_IJLi22EEEENST_IJLi23ELi24EEEENST_IJLi25EEEEEEENST_IJLi22ELi23ELi24ELi25EEEElEENSB_INS5_IJSR_SP_SP_SR_SG_SG_S2A_S2C_EEENS5_IJSU_SV_SW_SY_SX_SZ_S11_S10_EEENS5_IJS1M_SX_SY_S1N_S11_S12_NST_IJLi9ELi10EEEENST_IJLi11EEEEEEENST_IJLi8ELi9ELi10ELi11EEEElEENS5_IJNSB_INS5_IJSK_SP_SP_NSQ_INS5_IJiS2B_NS27_IiLi64EEEEEELb0EEES2W_EEENS5_IJSU_SV_SW_SX_SY_EEENS5_IJS1M_SX_SY_NST_IJLi5ELi6ELi7EEEENST_IJLi8ELi9ELi10EEEEEEENST_IJLi5ELi6ELi7ELi8ELi9ELi10EEEElEEEEES33_NS_31BlockToCTileMap_M00_N00_M01_N01ILi128ELi128ES1V_Lb0EEENS1_30ComputePtrOffsetOfStridedBatchILi1ELi1ELi1EvEELb0ELb0EEEvPKT0_S3B_T1_PT2_T3_T4_T5_iT6_T7_T8_T9_T10_T11_.num_vgpr, 120
	.set _ZN2ck16tensor_operation6device12_GLOBAL__N_137kernel_grouped_conv_fwd_dl_multiple_dINS_32GridwiseGemmDlMultipleD_km_kn_mnILi256EDF16_fNS_5TupleIJDF16_EEEDF16_NS0_12element_wise11PassThroughES8_NS7_7AddReluELNS_25InMemoryDataOperationEnumE0ENS_16TensorDescriptorINS5_IJNS_5EmbedINS5_IJiiiiEEESD_Lb0EEENS_11PassThroughIiEENS_3PadIiiiLb0EEESI_SG_SG_NSC_INS5_IJiiEEESJ_Lb0EEESK_SG_NS_23Merge_v2_magic_divisionINS5_IJiiiEEEEESN_NS_8RightPadIiiLb0EEESP_NS_7UnMergeISJ_Lb0EEESG_EEENS5_IJNS_8SequenceIJLi0EEEENST_IJLi1EEEENST_IJLi2EEEENST_IJLi3EEEENST_IJLi4EEEENST_IJLi5EEEENST_IJLi6EEEENST_IJLi7EEEENST_IJLi8EEEENST_IJLi9ELi11ELi13EEEENST_IJLi10ELi12ELi14EEEENST_IJLi15EEEENST_IJLi16EEEENST_IJLi18EEEENST_IJLi17EEEEEEENS5_IJNST_IJLi1ELi2ELi3ELi4EEEESZ_S10_S11_S12_NST_IJLi9EEEENST_IJLi10ELi11EEEENST_IJLi12ELi13EEEENST_IJLi14EEEES15_S16_S18_S17_NST_IJLi19ELi20EEEENST_IJLi21EEEEEEENST_IJLi19ELi21ELi20EEEElEENSB_INS5_IJSR_SP_SP_SR_SG_EEENS5_IJSU_SV_SW_SY_SX_EEENS5_IJNST_IJLi1ELi2EEEESX_SY_NST_IJLi5ELi6EEEES11_EEENST_IJLi5ELi7ELi6EEEElEENSB_INS5_IJSK_SP_SP_EEENS5_IJSU_SV_SW_EEENS5_IJS1M_SX_SY_EEENST_IJLi3ELi4EEEElEELi128ELi128ELi16ELi2ELi4ELi4ELi1ENST_IJLi8ELi2EEEES1W_NST_IJLi8ELi1ELi1ELi2EEEENST_IJLi2ELi1ELi128ELi1EEEENST_IJLi1ELi2ELi0ELi3EEEES1Z_NST_IJLi4ELi1ELi1ELi2EEEES1Z_NST_IJLi1ELi1ELi1ELi2EEEES1X_S1Y_S1Z_S1Z_S20_S1Z_S21_NST_IJLi0ELi1ELi2ELi3ELi4ELi5EEEELi5ELi4EEEDF16_NS5_IJPKDF16_EEEDF16_S8_S8_S9_NSB_INS5_IJSE_SG_SI_SI_SG_SG_SK_SK_SG_SN_SN_SP_SP_SR_SG_SG_NSQ_INS5_IJiNS_17integral_constantIiLi128EEEEEELb0EEENSF_INS27_IiLi2EEEEEEEENS5_IJSU_SV_SW_SX_SY_SZ_S10_S11_S12_S13_S14_S15_S16_S17_S18_NST_IJLi19EEEES1G_NST_IJLi20EEEEEEENS5_IJS1A_SZ_S10_S11_S12_S1B_S1C_S1D_S1E_S15_S16_S18_S17_S1F_S1G_NST_IJLi22EEEENST_IJLi23ELi24EEEENST_IJLi25EEEEEEENST_IJLi22ELi23ELi24ELi25EEEElEENSB_INS5_IJSR_SP_SP_SR_SG_SG_S2A_S2C_EEENS5_IJSU_SV_SW_SY_SX_SZ_S11_S10_EEENS5_IJS1M_SX_SY_S1N_S11_S12_NST_IJLi9ELi10EEEENST_IJLi11EEEEEEENST_IJLi8ELi9ELi10ELi11EEEElEENS5_IJNSB_INS5_IJSK_SP_SP_NSQ_INS5_IJiS2B_NS27_IiLi64EEEEEELb0EEES2W_EEENS5_IJSU_SV_SW_SX_SY_EEENS5_IJS1M_SX_SY_NST_IJLi5ELi6ELi7EEEENST_IJLi8ELi9ELi10EEEEEEENST_IJLi5ELi6ELi7ELi8ELi9ELi10EEEElEEEEES33_NS_31BlockToCTileMap_M00_N00_M01_N01ILi128ELi128ES1V_Lb0EEENS1_30ComputePtrOffsetOfStridedBatchILi1ELi1ELi1EvEELb0ELb0EEEvPKT0_S3B_T1_PT2_T3_T4_T5_iT6_T7_T8_T9_T10_T11_.num_agpr, 0
	.set _ZN2ck16tensor_operation6device12_GLOBAL__N_137kernel_grouped_conv_fwd_dl_multiple_dINS_32GridwiseGemmDlMultipleD_km_kn_mnILi256EDF16_fNS_5TupleIJDF16_EEEDF16_NS0_12element_wise11PassThroughES8_NS7_7AddReluELNS_25InMemoryDataOperationEnumE0ENS_16TensorDescriptorINS5_IJNS_5EmbedINS5_IJiiiiEEESD_Lb0EEENS_11PassThroughIiEENS_3PadIiiiLb0EEESI_SG_SG_NSC_INS5_IJiiEEESJ_Lb0EEESK_SG_NS_23Merge_v2_magic_divisionINS5_IJiiiEEEEESN_NS_8RightPadIiiLb0EEESP_NS_7UnMergeISJ_Lb0EEESG_EEENS5_IJNS_8SequenceIJLi0EEEENST_IJLi1EEEENST_IJLi2EEEENST_IJLi3EEEENST_IJLi4EEEENST_IJLi5EEEENST_IJLi6EEEENST_IJLi7EEEENST_IJLi8EEEENST_IJLi9ELi11ELi13EEEENST_IJLi10ELi12ELi14EEEENST_IJLi15EEEENST_IJLi16EEEENST_IJLi18EEEENST_IJLi17EEEEEEENS5_IJNST_IJLi1ELi2ELi3ELi4EEEESZ_S10_S11_S12_NST_IJLi9EEEENST_IJLi10ELi11EEEENST_IJLi12ELi13EEEENST_IJLi14EEEES15_S16_S18_S17_NST_IJLi19ELi20EEEENST_IJLi21EEEEEEENST_IJLi19ELi21ELi20EEEElEENSB_INS5_IJSR_SP_SP_SR_SG_EEENS5_IJSU_SV_SW_SY_SX_EEENS5_IJNST_IJLi1ELi2EEEESX_SY_NST_IJLi5ELi6EEEES11_EEENST_IJLi5ELi7ELi6EEEElEENSB_INS5_IJSK_SP_SP_EEENS5_IJSU_SV_SW_EEENS5_IJS1M_SX_SY_EEENST_IJLi3ELi4EEEElEELi128ELi128ELi16ELi2ELi4ELi4ELi1ENST_IJLi8ELi2EEEES1W_NST_IJLi8ELi1ELi1ELi2EEEENST_IJLi2ELi1ELi128ELi1EEEENST_IJLi1ELi2ELi0ELi3EEEES1Z_NST_IJLi4ELi1ELi1ELi2EEEES1Z_NST_IJLi1ELi1ELi1ELi2EEEES1X_S1Y_S1Z_S1Z_S20_S1Z_S21_NST_IJLi0ELi1ELi2ELi3ELi4ELi5EEEELi5ELi4EEEDF16_NS5_IJPKDF16_EEEDF16_S8_S8_S9_NSB_INS5_IJSE_SG_SI_SI_SG_SG_SK_SK_SG_SN_SN_SP_SP_SR_SG_SG_NSQ_INS5_IJiNS_17integral_constantIiLi128EEEEEELb0EEENSF_INS27_IiLi2EEEEEEEENS5_IJSU_SV_SW_SX_SY_SZ_S10_S11_S12_S13_S14_S15_S16_S17_S18_NST_IJLi19EEEES1G_NST_IJLi20EEEEEEENS5_IJS1A_SZ_S10_S11_S12_S1B_S1C_S1D_S1E_S15_S16_S18_S17_S1F_S1G_NST_IJLi22EEEENST_IJLi23ELi24EEEENST_IJLi25EEEEEEENST_IJLi22ELi23ELi24ELi25EEEElEENSB_INS5_IJSR_SP_SP_SR_SG_SG_S2A_S2C_EEENS5_IJSU_SV_SW_SY_SX_SZ_S11_S10_EEENS5_IJS1M_SX_SY_S1N_S11_S12_NST_IJLi9ELi10EEEENST_IJLi11EEEEEEENST_IJLi8ELi9ELi10ELi11EEEElEENS5_IJNSB_INS5_IJSK_SP_SP_NSQ_INS5_IJiS2B_NS27_IiLi64EEEEEELb0EEES2W_EEENS5_IJSU_SV_SW_SX_SY_EEENS5_IJS1M_SX_SY_NST_IJLi5ELi6ELi7EEEENST_IJLi8ELi9ELi10EEEEEEENST_IJLi5ELi6ELi7ELi8ELi9ELi10EEEElEEEEES33_NS_31BlockToCTileMap_M00_N00_M01_N01ILi128ELi128ES1V_Lb0EEENS1_30ComputePtrOffsetOfStridedBatchILi1ELi1ELi1EvEELb0ELb0EEEvPKT0_S3B_T1_PT2_T3_T4_T5_iT6_T7_T8_T9_T10_T11_.numbered_sgpr, 78
	.set _ZN2ck16tensor_operation6device12_GLOBAL__N_137kernel_grouped_conv_fwd_dl_multiple_dINS_32GridwiseGemmDlMultipleD_km_kn_mnILi256EDF16_fNS_5TupleIJDF16_EEEDF16_NS0_12element_wise11PassThroughES8_NS7_7AddReluELNS_25InMemoryDataOperationEnumE0ENS_16TensorDescriptorINS5_IJNS_5EmbedINS5_IJiiiiEEESD_Lb0EEENS_11PassThroughIiEENS_3PadIiiiLb0EEESI_SG_SG_NSC_INS5_IJiiEEESJ_Lb0EEESK_SG_NS_23Merge_v2_magic_divisionINS5_IJiiiEEEEESN_NS_8RightPadIiiLb0EEESP_NS_7UnMergeISJ_Lb0EEESG_EEENS5_IJNS_8SequenceIJLi0EEEENST_IJLi1EEEENST_IJLi2EEEENST_IJLi3EEEENST_IJLi4EEEENST_IJLi5EEEENST_IJLi6EEEENST_IJLi7EEEENST_IJLi8EEEENST_IJLi9ELi11ELi13EEEENST_IJLi10ELi12ELi14EEEENST_IJLi15EEEENST_IJLi16EEEENST_IJLi18EEEENST_IJLi17EEEEEEENS5_IJNST_IJLi1ELi2ELi3ELi4EEEESZ_S10_S11_S12_NST_IJLi9EEEENST_IJLi10ELi11EEEENST_IJLi12ELi13EEEENST_IJLi14EEEES15_S16_S18_S17_NST_IJLi19ELi20EEEENST_IJLi21EEEEEEENST_IJLi19ELi21ELi20EEEElEENSB_INS5_IJSR_SP_SP_SR_SG_EEENS5_IJSU_SV_SW_SY_SX_EEENS5_IJNST_IJLi1ELi2EEEESX_SY_NST_IJLi5ELi6EEEES11_EEENST_IJLi5ELi7ELi6EEEElEENSB_INS5_IJSK_SP_SP_EEENS5_IJSU_SV_SW_EEENS5_IJS1M_SX_SY_EEENST_IJLi3ELi4EEEElEELi128ELi128ELi16ELi2ELi4ELi4ELi1ENST_IJLi8ELi2EEEES1W_NST_IJLi8ELi1ELi1ELi2EEEENST_IJLi2ELi1ELi128ELi1EEEENST_IJLi1ELi2ELi0ELi3EEEES1Z_NST_IJLi4ELi1ELi1ELi2EEEES1Z_NST_IJLi1ELi1ELi1ELi2EEEES1X_S1Y_S1Z_S1Z_S20_S1Z_S21_NST_IJLi0ELi1ELi2ELi3ELi4ELi5EEEELi5ELi4EEEDF16_NS5_IJPKDF16_EEEDF16_S8_S8_S9_NSB_INS5_IJSE_SG_SI_SI_SG_SG_SK_SK_SG_SN_SN_SP_SP_SR_SG_SG_NSQ_INS5_IJiNS_17integral_constantIiLi128EEEEEELb0EEENSF_INS27_IiLi2EEEEEEEENS5_IJSU_SV_SW_SX_SY_SZ_S10_S11_S12_S13_S14_S15_S16_S17_S18_NST_IJLi19EEEES1G_NST_IJLi20EEEEEEENS5_IJS1A_SZ_S10_S11_S12_S1B_S1C_S1D_S1E_S15_S16_S18_S17_S1F_S1G_NST_IJLi22EEEENST_IJLi23ELi24EEEENST_IJLi25EEEEEEENST_IJLi22ELi23ELi24ELi25EEEElEENSB_INS5_IJSR_SP_SP_SR_SG_SG_S2A_S2C_EEENS5_IJSU_SV_SW_SY_SX_SZ_S11_S10_EEENS5_IJS1M_SX_SY_S1N_S11_S12_NST_IJLi9ELi10EEEENST_IJLi11EEEEEEENST_IJLi8ELi9ELi10ELi11EEEElEENS5_IJNSB_INS5_IJSK_SP_SP_NSQ_INS5_IJiS2B_NS27_IiLi64EEEEEELb0EEES2W_EEENS5_IJSU_SV_SW_SX_SY_EEENS5_IJS1M_SX_SY_NST_IJLi5ELi6ELi7EEEENST_IJLi8ELi9ELi10EEEEEEENST_IJLi5ELi6ELi7ELi8ELi9ELi10EEEElEEEEES33_NS_31BlockToCTileMap_M00_N00_M01_N01ILi128ELi128ES1V_Lb0EEENS1_30ComputePtrOffsetOfStridedBatchILi1ELi1ELi1EvEELb0ELb0EEEvPKT0_S3B_T1_PT2_T3_T4_T5_iT6_T7_T8_T9_T10_T11_.num_named_barrier, 0
	.set _ZN2ck16tensor_operation6device12_GLOBAL__N_137kernel_grouped_conv_fwd_dl_multiple_dINS_32GridwiseGemmDlMultipleD_km_kn_mnILi256EDF16_fNS_5TupleIJDF16_EEEDF16_NS0_12element_wise11PassThroughES8_NS7_7AddReluELNS_25InMemoryDataOperationEnumE0ENS_16TensorDescriptorINS5_IJNS_5EmbedINS5_IJiiiiEEESD_Lb0EEENS_11PassThroughIiEENS_3PadIiiiLb0EEESI_SG_SG_NSC_INS5_IJiiEEESJ_Lb0EEESK_SG_NS_23Merge_v2_magic_divisionINS5_IJiiiEEEEESN_NS_8RightPadIiiLb0EEESP_NS_7UnMergeISJ_Lb0EEESG_EEENS5_IJNS_8SequenceIJLi0EEEENST_IJLi1EEEENST_IJLi2EEEENST_IJLi3EEEENST_IJLi4EEEENST_IJLi5EEEENST_IJLi6EEEENST_IJLi7EEEENST_IJLi8EEEENST_IJLi9ELi11ELi13EEEENST_IJLi10ELi12ELi14EEEENST_IJLi15EEEENST_IJLi16EEEENST_IJLi18EEEENST_IJLi17EEEEEEENS5_IJNST_IJLi1ELi2ELi3ELi4EEEESZ_S10_S11_S12_NST_IJLi9EEEENST_IJLi10ELi11EEEENST_IJLi12ELi13EEEENST_IJLi14EEEES15_S16_S18_S17_NST_IJLi19ELi20EEEENST_IJLi21EEEEEEENST_IJLi19ELi21ELi20EEEElEENSB_INS5_IJSR_SP_SP_SR_SG_EEENS5_IJSU_SV_SW_SY_SX_EEENS5_IJNST_IJLi1ELi2EEEESX_SY_NST_IJLi5ELi6EEEES11_EEENST_IJLi5ELi7ELi6EEEElEENSB_INS5_IJSK_SP_SP_EEENS5_IJSU_SV_SW_EEENS5_IJS1M_SX_SY_EEENST_IJLi3ELi4EEEElEELi128ELi128ELi16ELi2ELi4ELi4ELi1ENST_IJLi8ELi2EEEES1W_NST_IJLi8ELi1ELi1ELi2EEEENST_IJLi2ELi1ELi128ELi1EEEENST_IJLi1ELi2ELi0ELi3EEEES1Z_NST_IJLi4ELi1ELi1ELi2EEEES1Z_NST_IJLi1ELi1ELi1ELi2EEEES1X_S1Y_S1Z_S1Z_S20_S1Z_S21_NST_IJLi0ELi1ELi2ELi3ELi4ELi5EEEELi5ELi4EEEDF16_NS5_IJPKDF16_EEEDF16_S8_S8_S9_NSB_INS5_IJSE_SG_SI_SI_SG_SG_SK_SK_SG_SN_SN_SP_SP_SR_SG_SG_NSQ_INS5_IJiNS_17integral_constantIiLi128EEEEEELb0EEENSF_INS27_IiLi2EEEEEEEENS5_IJSU_SV_SW_SX_SY_SZ_S10_S11_S12_S13_S14_S15_S16_S17_S18_NST_IJLi19EEEES1G_NST_IJLi20EEEEEEENS5_IJS1A_SZ_S10_S11_S12_S1B_S1C_S1D_S1E_S15_S16_S18_S17_S1F_S1G_NST_IJLi22EEEENST_IJLi23ELi24EEEENST_IJLi25EEEEEEENST_IJLi22ELi23ELi24ELi25EEEElEENSB_INS5_IJSR_SP_SP_SR_SG_SG_S2A_S2C_EEENS5_IJSU_SV_SW_SY_SX_SZ_S11_S10_EEENS5_IJS1M_SX_SY_S1N_S11_S12_NST_IJLi9ELi10EEEENST_IJLi11EEEEEEENST_IJLi8ELi9ELi10ELi11EEEElEENS5_IJNSB_INS5_IJSK_SP_SP_NSQ_INS5_IJiS2B_NS27_IiLi64EEEEEELb0EEES2W_EEENS5_IJSU_SV_SW_SX_SY_EEENS5_IJS1M_SX_SY_NST_IJLi5ELi6ELi7EEEENST_IJLi8ELi9ELi10EEEEEEENST_IJLi5ELi6ELi7ELi8ELi9ELi10EEEElEEEEES33_NS_31BlockToCTileMap_M00_N00_M01_N01ILi128ELi128ES1V_Lb0EEENS1_30ComputePtrOffsetOfStridedBatchILi1ELi1ELi1EvEELb0ELb0EEEvPKT0_S3B_T1_PT2_T3_T4_T5_iT6_T7_T8_T9_T10_T11_.private_seg_size, 0
	.set _ZN2ck16tensor_operation6device12_GLOBAL__N_137kernel_grouped_conv_fwd_dl_multiple_dINS_32GridwiseGemmDlMultipleD_km_kn_mnILi256EDF16_fNS_5TupleIJDF16_EEEDF16_NS0_12element_wise11PassThroughES8_NS7_7AddReluELNS_25InMemoryDataOperationEnumE0ENS_16TensorDescriptorINS5_IJNS_5EmbedINS5_IJiiiiEEESD_Lb0EEENS_11PassThroughIiEENS_3PadIiiiLb0EEESI_SG_SG_NSC_INS5_IJiiEEESJ_Lb0EEESK_SG_NS_23Merge_v2_magic_divisionINS5_IJiiiEEEEESN_NS_8RightPadIiiLb0EEESP_NS_7UnMergeISJ_Lb0EEESG_EEENS5_IJNS_8SequenceIJLi0EEEENST_IJLi1EEEENST_IJLi2EEEENST_IJLi3EEEENST_IJLi4EEEENST_IJLi5EEEENST_IJLi6EEEENST_IJLi7EEEENST_IJLi8EEEENST_IJLi9ELi11ELi13EEEENST_IJLi10ELi12ELi14EEEENST_IJLi15EEEENST_IJLi16EEEENST_IJLi18EEEENST_IJLi17EEEEEEENS5_IJNST_IJLi1ELi2ELi3ELi4EEEESZ_S10_S11_S12_NST_IJLi9EEEENST_IJLi10ELi11EEEENST_IJLi12ELi13EEEENST_IJLi14EEEES15_S16_S18_S17_NST_IJLi19ELi20EEEENST_IJLi21EEEEEEENST_IJLi19ELi21ELi20EEEElEENSB_INS5_IJSR_SP_SP_SR_SG_EEENS5_IJSU_SV_SW_SY_SX_EEENS5_IJNST_IJLi1ELi2EEEESX_SY_NST_IJLi5ELi6EEEES11_EEENST_IJLi5ELi7ELi6EEEElEENSB_INS5_IJSK_SP_SP_EEENS5_IJSU_SV_SW_EEENS5_IJS1M_SX_SY_EEENST_IJLi3ELi4EEEElEELi128ELi128ELi16ELi2ELi4ELi4ELi1ENST_IJLi8ELi2EEEES1W_NST_IJLi8ELi1ELi1ELi2EEEENST_IJLi2ELi1ELi128ELi1EEEENST_IJLi1ELi2ELi0ELi3EEEES1Z_NST_IJLi4ELi1ELi1ELi2EEEES1Z_NST_IJLi1ELi1ELi1ELi2EEEES1X_S1Y_S1Z_S1Z_S20_S1Z_S21_NST_IJLi0ELi1ELi2ELi3ELi4ELi5EEEELi5ELi4EEEDF16_NS5_IJPKDF16_EEEDF16_S8_S8_S9_NSB_INS5_IJSE_SG_SI_SI_SG_SG_SK_SK_SG_SN_SN_SP_SP_SR_SG_SG_NSQ_INS5_IJiNS_17integral_constantIiLi128EEEEEELb0EEENSF_INS27_IiLi2EEEEEEEENS5_IJSU_SV_SW_SX_SY_SZ_S10_S11_S12_S13_S14_S15_S16_S17_S18_NST_IJLi19EEEES1G_NST_IJLi20EEEEEEENS5_IJS1A_SZ_S10_S11_S12_S1B_S1C_S1D_S1E_S15_S16_S18_S17_S1F_S1G_NST_IJLi22EEEENST_IJLi23ELi24EEEENST_IJLi25EEEEEEENST_IJLi22ELi23ELi24ELi25EEEElEENSB_INS5_IJSR_SP_SP_SR_SG_SG_S2A_S2C_EEENS5_IJSU_SV_SW_SY_SX_SZ_S11_S10_EEENS5_IJS1M_SX_SY_S1N_S11_S12_NST_IJLi9ELi10EEEENST_IJLi11EEEEEEENST_IJLi8ELi9ELi10ELi11EEEElEENS5_IJNSB_INS5_IJSK_SP_SP_NSQ_INS5_IJiS2B_NS27_IiLi64EEEEEELb0EEES2W_EEENS5_IJSU_SV_SW_SX_SY_EEENS5_IJS1M_SX_SY_NST_IJLi5ELi6ELi7EEEENST_IJLi8ELi9ELi10EEEEEEENST_IJLi5ELi6ELi7ELi8ELi9ELi10EEEElEEEEES33_NS_31BlockToCTileMap_M00_N00_M01_N01ILi128ELi128ES1V_Lb0EEENS1_30ComputePtrOffsetOfStridedBatchILi1ELi1ELi1EvEELb0ELb0EEEvPKT0_S3B_T1_PT2_T3_T4_T5_iT6_T7_T8_T9_T10_T11_.uses_vcc, 1
	.set _ZN2ck16tensor_operation6device12_GLOBAL__N_137kernel_grouped_conv_fwd_dl_multiple_dINS_32GridwiseGemmDlMultipleD_km_kn_mnILi256EDF16_fNS_5TupleIJDF16_EEEDF16_NS0_12element_wise11PassThroughES8_NS7_7AddReluELNS_25InMemoryDataOperationEnumE0ENS_16TensorDescriptorINS5_IJNS_5EmbedINS5_IJiiiiEEESD_Lb0EEENS_11PassThroughIiEENS_3PadIiiiLb0EEESI_SG_SG_NSC_INS5_IJiiEEESJ_Lb0EEESK_SG_NS_23Merge_v2_magic_divisionINS5_IJiiiEEEEESN_NS_8RightPadIiiLb0EEESP_NS_7UnMergeISJ_Lb0EEESG_EEENS5_IJNS_8SequenceIJLi0EEEENST_IJLi1EEEENST_IJLi2EEEENST_IJLi3EEEENST_IJLi4EEEENST_IJLi5EEEENST_IJLi6EEEENST_IJLi7EEEENST_IJLi8EEEENST_IJLi9ELi11ELi13EEEENST_IJLi10ELi12ELi14EEEENST_IJLi15EEEENST_IJLi16EEEENST_IJLi18EEEENST_IJLi17EEEEEEENS5_IJNST_IJLi1ELi2ELi3ELi4EEEESZ_S10_S11_S12_NST_IJLi9EEEENST_IJLi10ELi11EEEENST_IJLi12ELi13EEEENST_IJLi14EEEES15_S16_S18_S17_NST_IJLi19ELi20EEEENST_IJLi21EEEEEEENST_IJLi19ELi21ELi20EEEElEENSB_INS5_IJSR_SP_SP_SR_SG_EEENS5_IJSU_SV_SW_SY_SX_EEENS5_IJNST_IJLi1ELi2EEEESX_SY_NST_IJLi5ELi6EEEES11_EEENST_IJLi5ELi7ELi6EEEElEENSB_INS5_IJSK_SP_SP_EEENS5_IJSU_SV_SW_EEENS5_IJS1M_SX_SY_EEENST_IJLi3ELi4EEEElEELi128ELi128ELi16ELi2ELi4ELi4ELi1ENST_IJLi8ELi2EEEES1W_NST_IJLi8ELi1ELi1ELi2EEEENST_IJLi2ELi1ELi128ELi1EEEENST_IJLi1ELi2ELi0ELi3EEEES1Z_NST_IJLi4ELi1ELi1ELi2EEEES1Z_NST_IJLi1ELi1ELi1ELi2EEEES1X_S1Y_S1Z_S1Z_S20_S1Z_S21_NST_IJLi0ELi1ELi2ELi3ELi4ELi5EEEELi5ELi4EEEDF16_NS5_IJPKDF16_EEEDF16_S8_S8_S9_NSB_INS5_IJSE_SG_SI_SI_SG_SG_SK_SK_SG_SN_SN_SP_SP_SR_SG_SG_NSQ_INS5_IJiNS_17integral_constantIiLi128EEEEEELb0EEENSF_INS27_IiLi2EEEEEEEENS5_IJSU_SV_SW_SX_SY_SZ_S10_S11_S12_S13_S14_S15_S16_S17_S18_NST_IJLi19EEEES1G_NST_IJLi20EEEEEEENS5_IJS1A_SZ_S10_S11_S12_S1B_S1C_S1D_S1E_S15_S16_S18_S17_S1F_S1G_NST_IJLi22EEEENST_IJLi23ELi24EEEENST_IJLi25EEEEEEENST_IJLi22ELi23ELi24ELi25EEEElEENSB_INS5_IJSR_SP_SP_SR_SG_SG_S2A_S2C_EEENS5_IJSU_SV_SW_SY_SX_SZ_S11_S10_EEENS5_IJS1M_SX_SY_S1N_S11_S12_NST_IJLi9ELi10EEEENST_IJLi11EEEEEEENST_IJLi8ELi9ELi10ELi11EEEElEENS5_IJNSB_INS5_IJSK_SP_SP_NSQ_INS5_IJiS2B_NS27_IiLi64EEEEEELb0EEES2W_EEENS5_IJSU_SV_SW_SX_SY_EEENS5_IJS1M_SX_SY_NST_IJLi5ELi6ELi7EEEENST_IJLi8ELi9ELi10EEEEEEENST_IJLi5ELi6ELi7ELi8ELi9ELi10EEEElEEEEES33_NS_31BlockToCTileMap_M00_N00_M01_N01ILi128ELi128ES1V_Lb0EEENS1_30ComputePtrOffsetOfStridedBatchILi1ELi1ELi1EvEELb0ELb0EEEvPKT0_S3B_T1_PT2_T3_T4_T5_iT6_T7_T8_T9_T10_T11_.uses_flat_scratch, 0
	.set _ZN2ck16tensor_operation6device12_GLOBAL__N_137kernel_grouped_conv_fwd_dl_multiple_dINS_32GridwiseGemmDlMultipleD_km_kn_mnILi256EDF16_fNS_5TupleIJDF16_EEEDF16_NS0_12element_wise11PassThroughES8_NS7_7AddReluELNS_25InMemoryDataOperationEnumE0ENS_16TensorDescriptorINS5_IJNS_5EmbedINS5_IJiiiiEEESD_Lb0EEENS_11PassThroughIiEENS_3PadIiiiLb0EEESI_SG_SG_NSC_INS5_IJiiEEESJ_Lb0EEESK_SG_NS_23Merge_v2_magic_divisionINS5_IJiiiEEEEESN_NS_8RightPadIiiLb0EEESP_NS_7UnMergeISJ_Lb0EEESG_EEENS5_IJNS_8SequenceIJLi0EEEENST_IJLi1EEEENST_IJLi2EEEENST_IJLi3EEEENST_IJLi4EEEENST_IJLi5EEEENST_IJLi6EEEENST_IJLi7EEEENST_IJLi8EEEENST_IJLi9ELi11ELi13EEEENST_IJLi10ELi12ELi14EEEENST_IJLi15EEEENST_IJLi16EEEENST_IJLi18EEEENST_IJLi17EEEEEEENS5_IJNST_IJLi1ELi2ELi3ELi4EEEESZ_S10_S11_S12_NST_IJLi9EEEENST_IJLi10ELi11EEEENST_IJLi12ELi13EEEENST_IJLi14EEEES15_S16_S18_S17_NST_IJLi19ELi20EEEENST_IJLi21EEEEEEENST_IJLi19ELi21ELi20EEEElEENSB_INS5_IJSR_SP_SP_SR_SG_EEENS5_IJSU_SV_SW_SY_SX_EEENS5_IJNST_IJLi1ELi2EEEESX_SY_NST_IJLi5ELi6EEEES11_EEENST_IJLi5ELi7ELi6EEEElEENSB_INS5_IJSK_SP_SP_EEENS5_IJSU_SV_SW_EEENS5_IJS1M_SX_SY_EEENST_IJLi3ELi4EEEElEELi128ELi128ELi16ELi2ELi4ELi4ELi1ENST_IJLi8ELi2EEEES1W_NST_IJLi8ELi1ELi1ELi2EEEENST_IJLi2ELi1ELi128ELi1EEEENST_IJLi1ELi2ELi0ELi3EEEES1Z_NST_IJLi4ELi1ELi1ELi2EEEES1Z_NST_IJLi1ELi1ELi1ELi2EEEES1X_S1Y_S1Z_S1Z_S20_S1Z_S21_NST_IJLi0ELi1ELi2ELi3ELi4ELi5EEEELi5ELi4EEEDF16_NS5_IJPKDF16_EEEDF16_S8_S8_S9_NSB_INS5_IJSE_SG_SI_SI_SG_SG_SK_SK_SG_SN_SN_SP_SP_SR_SG_SG_NSQ_INS5_IJiNS_17integral_constantIiLi128EEEEEELb0EEENSF_INS27_IiLi2EEEEEEEENS5_IJSU_SV_SW_SX_SY_SZ_S10_S11_S12_S13_S14_S15_S16_S17_S18_NST_IJLi19EEEES1G_NST_IJLi20EEEEEEENS5_IJS1A_SZ_S10_S11_S12_S1B_S1C_S1D_S1E_S15_S16_S18_S17_S1F_S1G_NST_IJLi22EEEENST_IJLi23ELi24EEEENST_IJLi25EEEEEEENST_IJLi22ELi23ELi24ELi25EEEElEENSB_INS5_IJSR_SP_SP_SR_SG_SG_S2A_S2C_EEENS5_IJSU_SV_SW_SY_SX_SZ_S11_S10_EEENS5_IJS1M_SX_SY_S1N_S11_S12_NST_IJLi9ELi10EEEENST_IJLi11EEEEEEENST_IJLi8ELi9ELi10ELi11EEEElEENS5_IJNSB_INS5_IJSK_SP_SP_NSQ_INS5_IJiS2B_NS27_IiLi64EEEEEELb0EEES2W_EEENS5_IJSU_SV_SW_SX_SY_EEENS5_IJS1M_SX_SY_NST_IJLi5ELi6ELi7EEEENST_IJLi8ELi9ELi10EEEEEEENST_IJLi5ELi6ELi7ELi8ELi9ELi10EEEElEEEEES33_NS_31BlockToCTileMap_M00_N00_M01_N01ILi128ELi128ES1V_Lb0EEENS1_30ComputePtrOffsetOfStridedBatchILi1ELi1ELi1EvEELb0ELb0EEEvPKT0_S3B_T1_PT2_T3_T4_T5_iT6_T7_T8_T9_T10_T11_.has_dyn_sized_stack, 0
	.set _ZN2ck16tensor_operation6device12_GLOBAL__N_137kernel_grouped_conv_fwd_dl_multiple_dINS_32GridwiseGemmDlMultipleD_km_kn_mnILi256EDF16_fNS_5TupleIJDF16_EEEDF16_NS0_12element_wise11PassThroughES8_NS7_7AddReluELNS_25InMemoryDataOperationEnumE0ENS_16TensorDescriptorINS5_IJNS_5EmbedINS5_IJiiiiEEESD_Lb0EEENS_11PassThroughIiEENS_3PadIiiiLb0EEESI_SG_SG_NSC_INS5_IJiiEEESJ_Lb0EEESK_SG_NS_23Merge_v2_magic_divisionINS5_IJiiiEEEEESN_NS_8RightPadIiiLb0EEESP_NS_7UnMergeISJ_Lb0EEESG_EEENS5_IJNS_8SequenceIJLi0EEEENST_IJLi1EEEENST_IJLi2EEEENST_IJLi3EEEENST_IJLi4EEEENST_IJLi5EEEENST_IJLi6EEEENST_IJLi7EEEENST_IJLi8EEEENST_IJLi9ELi11ELi13EEEENST_IJLi10ELi12ELi14EEEENST_IJLi15EEEENST_IJLi16EEEENST_IJLi18EEEENST_IJLi17EEEEEEENS5_IJNST_IJLi1ELi2ELi3ELi4EEEESZ_S10_S11_S12_NST_IJLi9EEEENST_IJLi10ELi11EEEENST_IJLi12ELi13EEEENST_IJLi14EEEES15_S16_S18_S17_NST_IJLi19ELi20EEEENST_IJLi21EEEEEEENST_IJLi19ELi21ELi20EEEElEENSB_INS5_IJSR_SP_SP_SR_SG_EEENS5_IJSU_SV_SW_SY_SX_EEENS5_IJNST_IJLi1ELi2EEEESX_SY_NST_IJLi5ELi6EEEES11_EEENST_IJLi5ELi7ELi6EEEElEENSB_INS5_IJSK_SP_SP_EEENS5_IJSU_SV_SW_EEENS5_IJS1M_SX_SY_EEENST_IJLi3ELi4EEEElEELi128ELi128ELi16ELi2ELi4ELi4ELi1ENST_IJLi8ELi2EEEES1W_NST_IJLi8ELi1ELi1ELi2EEEENST_IJLi2ELi1ELi128ELi1EEEENST_IJLi1ELi2ELi0ELi3EEEES1Z_NST_IJLi4ELi1ELi1ELi2EEEES1Z_NST_IJLi1ELi1ELi1ELi2EEEES1X_S1Y_S1Z_S1Z_S20_S1Z_S21_NST_IJLi0ELi1ELi2ELi3ELi4ELi5EEEELi5ELi4EEEDF16_NS5_IJPKDF16_EEEDF16_S8_S8_S9_NSB_INS5_IJSE_SG_SI_SI_SG_SG_SK_SK_SG_SN_SN_SP_SP_SR_SG_SG_NSQ_INS5_IJiNS_17integral_constantIiLi128EEEEEELb0EEENSF_INS27_IiLi2EEEEEEEENS5_IJSU_SV_SW_SX_SY_SZ_S10_S11_S12_S13_S14_S15_S16_S17_S18_NST_IJLi19EEEES1G_NST_IJLi20EEEEEEENS5_IJS1A_SZ_S10_S11_S12_S1B_S1C_S1D_S1E_S15_S16_S18_S17_S1F_S1G_NST_IJLi22EEEENST_IJLi23ELi24EEEENST_IJLi25EEEEEEENST_IJLi22ELi23ELi24ELi25EEEElEENSB_INS5_IJSR_SP_SP_SR_SG_SG_S2A_S2C_EEENS5_IJSU_SV_SW_SY_SX_SZ_S11_S10_EEENS5_IJS1M_SX_SY_S1N_S11_S12_NST_IJLi9ELi10EEEENST_IJLi11EEEEEEENST_IJLi8ELi9ELi10ELi11EEEElEENS5_IJNSB_INS5_IJSK_SP_SP_NSQ_INS5_IJiS2B_NS27_IiLi64EEEEEELb0EEES2W_EEENS5_IJSU_SV_SW_SX_SY_EEENS5_IJS1M_SX_SY_NST_IJLi5ELi6ELi7EEEENST_IJLi8ELi9ELi10EEEEEEENST_IJLi5ELi6ELi7ELi8ELi9ELi10EEEElEEEEES33_NS_31BlockToCTileMap_M00_N00_M01_N01ILi128ELi128ES1V_Lb0EEENS1_30ComputePtrOffsetOfStridedBatchILi1ELi1ELi1EvEELb0ELb0EEEvPKT0_S3B_T1_PT2_T3_T4_T5_iT6_T7_T8_T9_T10_T11_.has_recursion, 0
	.set _ZN2ck16tensor_operation6device12_GLOBAL__N_137kernel_grouped_conv_fwd_dl_multiple_dINS_32GridwiseGemmDlMultipleD_km_kn_mnILi256EDF16_fNS_5TupleIJDF16_EEEDF16_NS0_12element_wise11PassThroughES8_NS7_7AddReluELNS_25InMemoryDataOperationEnumE0ENS_16TensorDescriptorINS5_IJNS_5EmbedINS5_IJiiiiEEESD_Lb0EEENS_11PassThroughIiEENS_3PadIiiiLb0EEESI_SG_SG_NSC_INS5_IJiiEEESJ_Lb0EEESK_SG_NS_23Merge_v2_magic_divisionINS5_IJiiiEEEEESN_NS_8RightPadIiiLb0EEESP_NS_7UnMergeISJ_Lb0EEESG_EEENS5_IJNS_8SequenceIJLi0EEEENST_IJLi1EEEENST_IJLi2EEEENST_IJLi3EEEENST_IJLi4EEEENST_IJLi5EEEENST_IJLi6EEEENST_IJLi7EEEENST_IJLi8EEEENST_IJLi9ELi11ELi13EEEENST_IJLi10ELi12ELi14EEEENST_IJLi15EEEENST_IJLi16EEEENST_IJLi18EEEENST_IJLi17EEEEEEENS5_IJNST_IJLi1ELi2ELi3ELi4EEEESZ_S10_S11_S12_NST_IJLi9EEEENST_IJLi10ELi11EEEENST_IJLi12ELi13EEEENST_IJLi14EEEES15_S16_S18_S17_NST_IJLi19ELi20EEEENST_IJLi21EEEEEEENST_IJLi19ELi21ELi20EEEElEENSB_INS5_IJSR_SP_SP_SR_SG_EEENS5_IJSU_SV_SW_SY_SX_EEENS5_IJNST_IJLi1ELi2EEEESX_SY_NST_IJLi5ELi6EEEES11_EEENST_IJLi5ELi7ELi6EEEElEENSB_INS5_IJSK_SP_SP_EEENS5_IJSU_SV_SW_EEENS5_IJS1M_SX_SY_EEENST_IJLi3ELi4EEEElEELi128ELi128ELi16ELi2ELi4ELi4ELi1ENST_IJLi8ELi2EEEES1W_NST_IJLi8ELi1ELi1ELi2EEEENST_IJLi2ELi1ELi128ELi1EEEENST_IJLi1ELi2ELi0ELi3EEEES1Z_NST_IJLi4ELi1ELi1ELi2EEEES1Z_NST_IJLi1ELi1ELi1ELi2EEEES1X_S1Y_S1Z_S1Z_S20_S1Z_S21_NST_IJLi0ELi1ELi2ELi3ELi4ELi5EEEELi5ELi4EEEDF16_NS5_IJPKDF16_EEEDF16_S8_S8_S9_NSB_INS5_IJSE_SG_SI_SI_SG_SG_SK_SK_SG_SN_SN_SP_SP_SR_SG_SG_NSQ_INS5_IJiNS_17integral_constantIiLi128EEEEEELb0EEENSF_INS27_IiLi2EEEEEEEENS5_IJSU_SV_SW_SX_SY_SZ_S10_S11_S12_S13_S14_S15_S16_S17_S18_NST_IJLi19EEEES1G_NST_IJLi20EEEEEEENS5_IJS1A_SZ_S10_S11_S12_S1B_S1C_S1D_S1E_S15_S16_S18_S17_S1F_S1G_NST_IJLi22EEEENST_IJLi23ELi24EEEENST_IJLi25EEEEEEENST_IJLi22ELi23ELi24ELi25EEEElEENSB_INS5_IJSR_SP_SP_SR_SG_SG_S2A_S2C_EEENS5_IJSU_SV_SW_SY_SX_SZ_S11_S10_EEENS5_IJS1M_SX_SY_S1N_S11_S12_NST_IJLi9ELi10EEEENST_IJLi11EEEEEEENST_IJLi8ELi9ELi10ELi11EEEElEENS5_IJNSB_INS5_IJSK_SP_SP_NSQ_INS5_IJiS2B_NS27_IiLi64EEEEEELb0EEES2W_EEENS5_IJSU_SV_SW_SX_SY_EEENS5_IJS1M_SX_SY_NST_IJLi5ELi6ELi7EEEENST_IJLi8ELi9ELi10EEEEEEENST_IJLi5ELi6ELi7ELi8ELi9ELi10EEEElEEEEES33_NS_31BlockToCTileMap_M00_N00_M01_N01ILi128ELi128ES1V_Lb0EEENS1_30ComputePtrOffsetOfStridedBatchILi1ELi1ELi1EvEELb0ELb0EEEvPKT0_S3B_T1_PT2_T3_T4_T5_iT6_T7_T8_T9_T10_T11_.has_indirect_call, 0
	.section	.AMDGPU.csdata,"",@progbits
; Kernel info:
; codeLenInByte = 13360
; TotalNumSgprs: 82
; NumVgprs: 120
; ScratchSize: 0
; MemoryBound: 0
; FloatMode: 240
; IeeeMode: 1
; LDSByteSize: 32768 bytes/workgroup (compile time only)
; SGPRBlocks: 12
; VGPRBlocks: 29
; NumSGPRsForWavesPerEU: 102
; NumVGPRsForWavesPerEU: 120
; Occupancy: 2
; WaveLimiterHint : 0
; COMPUTE_PGM_RSRC2:SCRATCH_EN: 0
; COMPUTE_PGM_RSRC2:USER_SGPR: 6
; COMPUTE_PGM_RSRC2:TRAP_HANDLER: 0
; COMPUTE_PGM_RSRC2:TGID_X_EN: 1
; COMPUTE_PGM_RSRC2:TGID_Y_EN: 0
; COMPUTE_PGM_RSRC2:TGID_Z_EN: 0
; COMPUTE_PGM_RSRC2:TIDIG_COMP_CNT: 0
	.section	.text._ZN2ck16tensor_operation6device12_GLOBAL__N_137kernel_grouped_conv_fwd_dl_multiple_dINS_32GridwiseGemmDlMultipleD_km_kn_mnILi256EDF16_fNS_5TupleIJDF16_EEEDF16_NS0_12element_wise11PassThroughES8_NS7_7AddReluELNS_25InMemoryDataOperationEnumE0ENS_16TensorDescriptorINS5_IJNS_5EmbedINS5_IJiiiiiEEESD_Lb0EEENS_11PassThroughIiEENS_3PadIiiiLb0EEESI_SI_SG_SG_NSC_INS5_IJiiEEESJ_Lb0EEESK_SK_SG_NS_23Merge_v2_magic_divisionINS5_IJiiiiEEEEESN_NS_8RightPadIiiLb0EEESP_NS_7UnMergeISJ_Lb0EEESG_EEENS5_IJNS_8SequenceIJLi0EEEENST_IJLi1EEEENST_IJLi2EEEENST_IJLi3EEEENST_IJLi4EEEENST_IJLi5EEEENST_IJLi6EEEENST_IJLi7EEEENST_IJLi8EEEENST_IJLi9EEEENST_IJLi10EEEENST_IJLi11ELi13ELi15ELi17EEEENST_IJLi12ELi14ELi16ELi18EEEENST_IJLi19EEEENST_IJLi20EEEENST_IJLi22EEEENST_IJLi21EEEEEEENS5_IJNST_IJLi1ELi2ELi3ELi4ELi5EEEES10_S11_S12_S13_S14_NST_IJLi11EEEENST_IJLi12ELi13EEEENST_IJLi14ELi15EEEENST_IJLi16ELi17EEEENST_IJLi18EEEES17_S18_S1A_S19_NST_IJLi23ELi24EEEENST_IJLi25EEEEEEENST_IJLi23ELi25ELi24EEEElEENSB_INS5_IJSR_SP_SP_SR_SG_EEENS5_IJSU_SV_SW_SY_SX_EEENS5_IJNST_IJLi1ELi2EEEESX_SY_NST_IJLi5ELi6EEEES11_EEENST_IJLi5ELi7ELi6EEEElEENSB_INS5_IJSK_SP_SP_EEENS5_IJSU_SV_SW_EEENS5_IJS1P_SX_SY_EEENST_IJLi3ELi4EEEElEELi128ELi128ELi16ELi2ELi4ELi4ELi1ENST_IJLi8ELi2EEEES1Z_NST_IJLi8ELi1ELi1ELi2EEEENST_IJLi2ELi1ELi128ELi1EEEENST_IJLi1ELi2ELi0ELi3EEEES22_NST_IJLi4ELi1ELi1ELi2EEEES22_NST_IJLi1ELi1ELi1ELi2EEEES20_S21_S22_S22_S23_S22_S24_NST_IJLi0ELi1ELi2ELi3ELi4ELi5EEEELi5ELi4EEEDF16_NS5_IJPKDF16_EEEDF16_S8_S8_S9_NSB_INS5_IJSE_SG_SI_SI_SI_SG_SG_SK_SK_SK_SG_SN_SN_SP_SP_SR_SG_SG_NSQ_INS5_IJiNS_17integral_constantIiLi128EEEEEELb0EEENSF_INS2A_IiLi2EEEEEEEENS5_IJSU_SV_SW_SX_SY_SZ_S10_S11_S12_S13_S14_S15_S16_S17_S18_S19_S1A_NST_IJLi23EEEES1J_NST_IJLi24EEEEEEENS5_IJS1C_S10_S11_S12_S13_S14_S1D_S1E_S1F_S1G_S1H_S17_S18_S1A_S19_S1I_S1J_NST_IJLi26EEEENST_IJLi27ELi28EEEENST_IJLi29EEEEEEENST_IJLi26ELi27ELi28ELi29EEEElEENSB_INS5_IJSR_SP_SP_SR_SG_SG_S2D_S2F_EEENS5_IJSU_SV_SW_SY_SX_SZ_S11_S10_EEENS5_IJS1P_SX_SY_S1Q_S11_S12_NST_IJLi9ELi10EEEES1D_EEENST_IJLi8ELi9ELi10ELi11EEEElEENS5_IJNSB_INS5_IJSK_SP_SP_NSQ_INS5_IJiS2E_NS2A_IiLi64EEEEEELb0EEES2Y_EEENS5_IJSU_SV_SW_SX_SY_EEENS5_IJS1P_SX_SY_NST_IJLi5ELi6ELi7EEEENST_IJLi8ELi9ELi10EEEEEEENST_IJLi5ELi6ELi7ELi8ELi9ELi10EEEElEEEEES35_NS_31BlockToCTileMap_M00_N00_M01_N01ILi128ELi128ES1Y_Lb0EEENS1_30ComputePtrOffsetOfStridedBatchILi1ELi1ELi1EvEELb1ELb1EEEvPKT0_S3D_T1_PT2_T3_T4_T5_iT6_T7_T8_T9_T10_T11_,"axG",@progbits,_ZN2ck16tensor_operation6device12_GLOBAL__N_137kernel_grouped_conv_fwd_dl_multiple_dINS_32GridwiseGemmDlMultipleD_km_kn_mnILi256EDF16_fNS_5TupleIJDF16_EEEDF16_NS0_12element_wise11PassThroughES8_NS7_7AddReluELNS_25InMemoryDataOperationEnumE0ENS_16TensorDescriptorINS5_IJNS_5EmbedINS5_IJiiiiiEEESD_Lb0EEENS_11PassThroughIiEENS_3PadIiiiLb0EEESI_SI_SG_SG_NSC_INS5_IJiiEEESJ_Lb0EEESK_SK_SG_NS_23Merge_v2_magic_divisionINS5_IJiiiiEEEEESN_NS_8RightPadIiiLb0EEESP_NS_7UnMergeISJ_Lb0EEESG_EEENS5_IJNS_8SequenceIJLi0EEEENST_IJLi1EEEENST_IJLi2EEEENST_IJLi3EEEENST_IJLi4EEEENST_IJLi5EEEENST_IJLi6EEEENST_IJLi7EEEENST_IJLi8EEEENST_IJLi9EEEENST_IJLi10EEEENST_IJLi11ELi13ELi15ELi17EEEENST_IJLi12ELi14ELi16ELi18EEEENST_IJLi19EEEENST_IJLi20EEEENST_IJLi22EEEENST_IJLi21EEEEEEENS5_IJNST_IJLi1ELi2ELi3ELi4ELi5EEEES10_S11_S12_S13_S14_NST_IJLi11EEEENST_IJLi12ELi13EEEENST_IJLi14ELi15EEEENST_IJLi16ELi17EEEENST_IJLi18EEEES17_S18_S1A_S19_NST_IJLi23ELi24EEEENST_IJLi25EEEEEEENST_IJLi23ELi25ELi24EEEElEENSB_INS5_IJSR_SP_SP_SR_SG_EEENS5_IJSU_SV_SW_SY_SX_EEENS5_IJNST_IJLi1ELi2EEEESX_SY_NST_IJLi5ELi6EEEES11_EEENST_IJLi5ELi7ELi6EEEElEENSB_INS5_IJSK_SP_SP_EEENS5_IJSU_SV_SW_EEENS5_IJS1P_SX_SY_EEENST_IJLi3ELi4EEEElEELi128ELi128ELi16ELi2ELi4ELi4ELi1ENST_IJLi8ELi2EEEES1Z_NST_IJLi8ELi1ELi1ELi2EEEENST_IJLi2ELi1ELi128ELi1EEEENST_IJLi1ELi2ELi0ELi3EEEES22_NST_IJLi4ELi1ELi1ELi2EEEES22_NST_IJLi1ELi1ELi1ELi2EEEES20_S21_S22_S22_S23_S22_S24_NST_IJLi0ELi1ELi2ELi3ELi4ELi5EEEELi5ELi4EEEDF16_NS5_IJPKDF16_EEEDF16_S8_S8_S9_NSB_INS5_IJSE_SG_SI_SI_SI_SG_SG_SK_SK_SK_SG_SN_SN_SP_SP_SR_SG_SG_NSQ_INS5_IJiNS_17integral_constantIiLi128EEEEEELb0EEENSF_INS2A_IiLi2EEEEEEEENS5_IJSU_SV_SW_SX_SY_SZ_S10_S11_S12_S13_S14_S15_S16_S17_S18_S19_S1A_NST_IJLi23EEEES1J_NST_IJLi24EEEEEEENS5_IJS1C_S10_S11_S12_S13_S14_S1D_S1E_S1F_S1G_S1H_S17_S18_S1A_S19_S1I_S1J_NST_IJLi26EEEENST_IJLi27ELi28EEEENST_IJLi29EEEEEEENST_IJLi26ELi27ELi28ELi29EEEElEENSB_INS5_IJSR_SP_SP_SR_SG_SG_S2D_S2F_EEENS5_IJSU_SV_SW_SY_SX_SZ_S11_S10_EEENS5_IJS1P_SX_SY_S1Q_S11_S12_NST_IJLi9ELi10EEEES1D_EEENST_IJLi8ELi9ELi10ELi11EEEElEENS5_IJNSB_INS5_IJSK_SP_SP_NSQ_INS5_IJiS2E_NS2A_IiLi64EEEEEELb0EEES2Y_EEENS5_IJSU_SV_SW_SX_SY_EEENS5_IJS1P_SX_SY_NST_IJLi5ELi6ELi7EEEENST_IJLi8ELi9ELi10EEEEEEENST_IJLi5ELi6ELi7ELi8ELi9ELi10EEEElEEEEES35_NS_31BlockToCTileMap_M00_N00_M01_N01ILi128ELi128ES1Y_Lb0EEENS1_30ComputePtrOffsetOfStridedBatchILi1ELi1ELi1EvEELb1ELb1EEEvPKT0_S3D_T1_PT2_T3_T4_T5_iT6_T7_T8_T9_T10_T11_,comdat
	.globl	_ZN2ck16tensor_operation6device12_GLOBAL__N_137kernel_grouped_conv_fwd_dl_multiple_dINS_32GridwiseGemmDlMultipleD_km_kn_mnILi256EDF16_fNS_5TupleIJDF16_EEEDF16_NS0_12element_wise11PassThroughES8_NS7_7AddReluELNS_25InMemoryDataOperationEnumE0ENS_16TensorDescriptorINS5_IJNS_5EmbedINS5_IJiiiiiEEESD_Lb0EEENS_11PassThroughIiEENS_3PadIiiiLb0EEESI_SI_SG_SG_NSC_INS5_IJiiEEESJ_Lb0EEESK_SK_SG_NS_23Merge_v2_magic_divisionINS5_IJiiiiEEEEESN_NS_8RightPadIiiLb0EEESP_NS_7UnMergeISJ_Lb0EEESG_EEENS5_IJNS_8SequenceIJLi0EEEENST_IJLi1EEEENST_IJLi2EEEENST_IJLi3EEEENST_IJLi4EEEENST_IJLi5EEEENST_IJLi6EEEENST_IJLi7EEEENST_IJLi8EEEENST_IJLi9EEEENST_IJLi10EEEENST_IJLi11ELi13ELi15ELi17EEEENST_IJLi12ELi14ELi16ELi18EEEENST_IJLi19EEEENST_IJLi20EEEENST_IJLi22EEEENST_IJLi21EEEEEEENS5_IJNST_IJLi1ELi2ELi3ELi4ELi5EEEES10_S11_S12_S13_S14_NST_IJLi11EEEENST_IJLi12ELi13EEEENST_IJLi14ELi15EEEENST_IJLi16ELi17EEEENST_IJLi18EEEES17_S18_S1A_S19_NST_IJLi23ELi24EEEENST_IJLi25EEEEEEENST_IJLi23ELi25ELi24EEEElEENSB_INS5_IJSR_SP_SP_SR_SG_EEENS5_IJSU_SV_SW_SY_SX_EEENS5_IJNST_IJLi1ELi2EEEESX_SY_NST_IJLi5ELi6EEEES11_EEENST_IJLi5ELi7ELi6EEEElEENSB_INS5_IJSK_SP_SP_EEENS5_IJSU_SV_SW_EEENS5_IJS1P_SX_SY_EEENST_IJLi3ELi4EEEElEELi128ELi128ELi16ELi2ELi4ELi4ELi1ENST_IJLi8ELi2EEEES1Z_NST_IJLi8ELi1ELi1ELi2EEEENST_IJLi2ELi1ELi128ELi1EEEENST_IJLi1ELi2ELi0ELi3EEEES22_NST_IJLi4ELi1ELi1ELi2EEEES22_NST_IJLi1ELi1ELi1ELi2EEEES20_S21_S22_S22_S23_S22_S24_NST_IJLi0ELi1ELi2ELi3ELi4ELi5EEEELi5ELi4EEEDF16_NS5_IJPKDF16_EEEDF16_S8_S8_S9_NSB_INS5_IJSE_SG_SI_SI_SI_SG_SG_SK_SK_SK_SG_SN_SN_SP_SP_SR_SG_SG_NSQ_INS5_IJiNS_17integral_constantIiLi128EEEEEELb0EEENSF_INS2A_IiLi2EEEEEEEENS5_IJSU_SV_SW_SX_SY_SZ_S10_S11_S12_S13_S14_S15_S16_S17_S18_S19_S1A_NST_IJLi23EEEES1J_NST_IJLi24EEEEEEENS5_IJS1C_S10_S11_S12_S13_S14_S1D_S1E_S1F_S1G_S1H_S17_S18_S1A_S19_S1I_S1J_NST_IJLi26EEEENST_IJLi27ELi28EEEENST_IJLi29EEEEEEENST_IJLi26ELi27ELi28ELi29EEEElEENSB_INS5_IJSR_SP_SP_SR_SG_SG_S2D_S2F_EEENS5_IJSU_SV_SW_SY_SX_SZ_S11_S10_EEENS5_IJS1P_SX_SY_S1Q_S11_S12_NST_IJLi9ELi10EEEES1D_EEENST_IJLi8ELi9ELi10ELi11EEEElEENS5_IJNSB_INS5_IJSK_SP_SP_NSQ_INS5_IJiS2E_NS2A_IiLi64EEEEEELb0EEES2Y_EEENS5_IJSU_SV_SW_SX_SY_EEENS5_IJS1P_SX_SY_NST_IJLi5ELi6ELi7EEEENST_IJLi8ELi9ELi10EEEEEEENST_IJLi5ELi6ELi7ELi8ELi9ELi10EEEElEEEEES35_NS_31BlockToCTileMap_M00_N00_M01_N01ILi128ELi128ES1Y_Lb0EEENS1_30ComputePtrOffsetOfStridedBatchILi1ELi1ELi1EvEELb1ELb1EEEvPKT0_S3D_T1_PT2_T3_T4_T5_iT6_T7_T8_T9_T10_T11_ ; -- Begin function _ZN2ck16tensor_operation6device12_GLOBAL__N_137kernel_grouped_conv_fwd_dl_multiple_dINS_32GridwiseGemmDlMultipleD_km_kn_mnILi256EDF16_fNS_5TupleIJDF16_EEEDF16_NS0_12element_wise11PassThroughES8_NS7_7AddReluELNS_25InMemoryDataOperationEnumE0ENS_16TensorDescriptorINS5_IJNS_5EmbedINS5_IJiiiiiEEESD_Lb0EEENS_11PassThroughIiEENS_3PadIiiiLb0EEESI_SI_SG_SG_NSC_INS5_IJiiEEESJ_Lb0EEESK_SK_SG_NS_23Merge_v2_magic_divisionINS5_IJiiiiEEEEESN_NS_8RightPadIiiLb0EEESP_NS_7UnMergeISJ_Lb0EEESG_EEENS5_IJNS_8SequenceIJLi0EEEENST_IJLi1EEEENST_IJLi2EEEENST_IJLi3EEEENST_IJLi4EEEENST_IJLi5EEEENST_IJLi6EEEENST_IJLi7EEEENST_IJLi8EEEENST_IJLi9EEEENST_IJLi10EEEENST_IJLi11ELi13ELi15ELi17EEEENST_IJLi12ELi14ELi16ELi18EEEENST_IJLi19EEEENST_IJLi20EEEENST_IJLi22EEEENST_IJLi21EEEEEEENS5_IJNST_IJLi1ELi2ELi3ELi4ELi5EEEES10_S11_S12_S13_S14_NST_IJLi11EEEENST_IJLi12ELi13EEEENST_IJLi14ELi15EEEENST_IJLi16ELi17EEEENST_IJLi18EEEES17_S18_S1A_S19_NST_IJLi23ELi24EEEENST_IJLi25EEEEEEENST_IJLi23ELi25ELi24EEEElEENSB_INS5_IJSR_SP_SP_SR_SG_EEENS5_IJSU_SV_SW_SY_SX_EEENS5_IJNST_IJLi1ELi2EEEESX_SY_NST_IJLi5ELi6EEEES11_EEENST_IJLi5ELi7ELi6EEEElEENSB_INS5_IJSK_SP_SP_EEENS5_IJSU_SV_SW_EEENS5_IJS1P_SX_SY_EEENST_IJLi3ELi4EEEElEELi128ELi128ELi16ELi2ELi4ELi4ELi1ENST_IJLi8ELi2EEEES1Z_NST_IJLi8ELi1ELi1ELi2EEEENST_IJLi2ELi1ELi128ELi1EEEENST_IJLi1ELi2ELi0ELi3EEEES22_NST_IJLi4ELi1ELi1ELi2EEEES22_NST_IJLi1ELi1ELi1ELi2EEEES20_S21_S22_S22_S23_S22_S24_NST_IJLi0ELi1ELi2ELi3ELi4ELi5EEEELi5ELi4EEEDF16_NS5_IJPKDF16_EEEDF16_S8_S8_S9_NSB_INS5_IJSE_SG_SI_SI_SI_SG_SG_SK_SK_SK_SG_SN_SN_SP_SP_SR_SG_SG_NSQ_INS5_IJiNS_17integral_constantIiLi128EEEEEELb0EEENSF_INS2A_IiLi2EEEEEEEENS5_IJSU_SV_SW_SX_SY_SZ_S10_S11_S12_S13_S14_S15_S16_S17_S18_S19_S1A_NST_IJLi23EEEES1J_NST_IJLi24EEEEEEENS5_IJS1C_S10_S11_S12_S13_S14_S1D_S1E_S1F_S1G_S1H_S17_S18_S1A_S19_S1I_S1J_NST_IJLi26EEEENST_IJLi27ELi28EEEENST_IJLi29EEEEEEENST_IJLi26ELi27ELi28ELi29EEEElEENSB_INS5_IJSR_SP_SP_SR_SG_SG_S2D_S2F_EEENS5_IJSU_SV_SW_SY_SX_SZ_S11_S10_EEENS5_IJS1P_SX_SY_S1Q_S11_S12_NST_IJLi9ELi10EEEES1D_EEENST_IJLi8ELi9ELi10ELi11EEEElEENS5_IJNSB_INS5_IJSK_SP_SP_NSQ_INS5_IJiS2E_NS2A_IiLi64EEEEEELb0EEES2Y_EEENS5_IJSU_SV_SW_SX_SY_EEENS5_IJS1P_SX_SY_NST_IJLi5ELi6ELi7EEEENST_IJLi8ELi9ELi10EEEEEEENST_IJLi5ELi6ELi7ELi8ELi9ELi10EEEElEEEEES35_NS_31BlockToCTileMap_M00_N00_M01_N01ILi128ELi128ES1Y_Lb0EEENS1_30ComputePtrOffsetOfStridedBatchILi1ELi1ELi1EvEELb1ELb1EEEvPKT0_S3D_T1_PT2_T3_T4_T5_iT6_T7_T8_T9_T10_T11_
	.p2align	8
	.type	_ZN2ck16tensor_operation6device12_GLOBAL__N_137kernel_grouped_conv_fwd_dl_multiple_dINS_32GridwiseGemmDlMultipleD_km_kn_mnILi256EDF16_fNS_5TupleIJDF16_EEEDF16_NS0_12element_wise11PassThroughES8_NS7_7AddReluELNS_25InMemoryDataOperationEnumE0ENS_16TensorDescriptorINS5_IJNS_5EmbedINS5_IJiiiiiEEESD_Lb0EEENS_11PassThroughIiEENS_3PadIiiiLb0EEESI_SI_SG_SG_NSC_INS5_IJiiEEESJ_Lb0EEESK_SK_SG_NS_23Merge_v2_magic_divisionINS5_IJiiiiEEEEESN_NS_8RightPadIiiLb0EEESP_NS_7UnMergeISJ_Lb0EEESG_EEENS5_IJNS_8SequenceIJLi0EEEENST_IJLi1EEEENST_IJLi2EEEENST_IJLi3EEEENST_IJLi4EEEENST_IJLi5EEEENST_IJLi6EEEENST_IJLi7EEEENST_IJLi8EEEENST_IJLi9EEEENST_IJLi10EEEENST_IJLi11ELi13ELi15ELi17EEEENST_IJLi12ELi14ELi16ELi18EEEENST_IJLi19EEEENST_IJLi20EEEENST_IJLi22EEEENST_IJLi21EEEEEEENS5_IJNST_IJLi1ELi2ELi3ELi4ELi5EEEES10_S11_S12_S13_S14_NST_IJLi11EEEENST_IJLi12ELi13EEEENST_IJLi14ELi15EEEENST_IJLi16ELi17EEEENST_IJLi18EEEES17_S18_S1A_S19_NST_IJLi23ELi24EEEENST_IJLi25EEEEEEENST_IJLi23ELi25ELi24EEEElEENSB_INS5_IJSR_SP_SP_SR_SG_EEENS5_IJSU_SV_SW_SY_SX_EEENS5_IJNST_IJLi1ELi2EEEESX_SY_NST_IJLi5ELi6EEEES11_EEENST_IJLi5ELi7ELi6EEEElEENSB_INS5_IJSK_SP_SP_EEENS5_IJSU_SV_SW_EEENS5_IJS1P_SX_SY_EEENST_IJLi3ELi4EEEElEELi128ELi128ELi16ELi2ELi4ELi4ELi1ENST_IJLi8ELi2EEEES1Z_NST_IJLi8ELi1ELi1ELi2EEEENST_IJLi2ELi1ELi128ELi1EEEENST_IJLi1ELi2ELi0ELi3EEEES22_NST_IJLi4ELi1ELi1ELi2EEEES22_NST_IJLi1ELi1ELi1ELi2EEEES20_S21_S22_S22_S23_S22_S24_NST_IJLi0ELi1ELi2ELi3ELi4ELi5EEEELi5ELi4EEEDF16_NS5_IJPKDF16_EEEDF16_S8_S8_S9_NSB_INS5_IJSE_SG_SI_SI_SI_SG_SG_SK_SK_SK_SG_SN_SN_SP_SP_SR_SG_SG_NSQ_INS5_IJiNS_17integral_constantIiLi128EEEEEELb0EEENSF_INS2A_IiLi2EEEEEEEENS5_IJSU_SV_SW_SX_SY_SZ_S10_S11_S12_S13_S14_S15_S16_S17_S18_S19_S1A_NST_IJLi23EEEES1J_NST_IJLi24EEEEEEENS5_IJS1C_S10_S11_S12_S13_S14_S1D_S1E_S1F_S1G_S1H_S17_S18_S1A_S19_S1I_S1J_NST_IJLi26EEEENST_IJLi27ELi28EEEENST_IJLi29EEEEEEENST_IJLi26ELi27ELi28ELi29EEEElEENSB_INS5_IJSR_SP_SP_SR_SG_SG_S2D_S2F_EEENS5_IJSU_SV_SW_SY_SX_SZ_S11_S10_EEENS5_IJS1P_SX_SY_S1Q_S11_S12_NST_IJLi9ELi10EEEES1D_EEENST_IJLi8ELi9ELi10ELi11EEEElEENS5_IJNSB_INS5_IJSK_SP_SP_NSQ_INS5_IJiS2E_NS2A_IiLi64EEEEEELb0EEES2Y_EEENS5_IJSU_SV_SW_SX_SY_EEENS5_IJS1P_SX_SY_NST_IJLi5ELi6ELi7EEEENST_IJLi8ELi9ELi10EEEEEEENST_IJLi5ELi6ELi7ELi8ELi9ELi10EEEElEEEEES35_NS_31BlockToCTileMap_M00_N00_M01_N01ILi128ELi128ES1Y_Lb0EEENS1_30ComputePtrOffsetOfStridedBatchILi1ELi1ELi1EvEELb1ELb1EEEvPKT0_S3D_T1_PT2_T3_T4_T5_iT6_T7_T8_T9_T10_T11_,@function
_ZN2ck16tensor_operation6device12_GLOBAL__N_137kernel_grouped_conv_fwd_dl_multiple_dINS_32GridwiseGemmDlMultipleD_km_kn_mnILi256EDF16_fNS_5TupleIJDF16_EEEDF16_NS0_12element_wise11PassThroughES8_NS7_7AddReluELNS_25InMemoryDataOperationEnumE0ENS_16TensorDescriptorINS5_IJNS_5EmbedINS5_IJiiiiiEEESD_Lb0EEENS_11PassThroughIiEENS_3PadIiiiLb0EEESI_SI_SG_SG_NSC_INS5_IJiiEEESJ_Lb0EEESK_SK_SG_NS_23Merge_v2_magic_divisionINS5_IJiiiiEEEEESN_NS_8RightPadIiiLb0EEESP_NS_7UnMergeISJ_Lb0EEESG_EEENS5_IJNS_8SequenceIJLi0EEEENST_IJLi1EEEENST_IJLi2EEEENST_IJLi3EEEENST_IJLi4EEEENST_IJLi5EEEENST_IJLi6EEEENST_IJLi7EEEENST_IJLi8EEEENST_IJLi9EEEENST_IJLi10EEEENST_IJLi11ELi13ELi15ELi17EEEENST_IJLi12ELi14ELi16ELi18EEEENST_IJLi19EEEENST_IJLi20EEEENST_IJLi22EEEENST_IJLi21EEEEEEENS5_IJNST_IJLi1ELi2ELi3ELi4ELi5EEEES10_S11_S12_S13_S14_NST_IJLi11EEEENST_IJLi12ELi13EEEENST_IJLi14ELi15EEEENST_IJLi16ELi17EEEENST_IJLi18EEEES17_S18_S1A_S19_NST_IJLi23ELi24EEEENST_IJLi25EEEEEEENST_IJLi23ELi25ELi24EEEElEENSB_INS5_IJSR_SP_SP_SR_SG_EEENS5_IJSU_SV_SW_SY_SX_EEENS5_IJNST_IJLi1ELi2EEEESX_SY_NST_IJLi5ELi6EEEES11_EEENST_IJLi5ELi7ELi6EEEElEENSB_INS5_IJSK_SP_SP_EEENS5_IJSU_SV_SW_EEENS5_IJS1P_SX_SY_EEENST_IJLi3ELi4EEEElEELi128ELi128ELi16ELi2ELi4ELi4ELi1ENST_IJLi8ELi2EEEES1Z_NST_IJLi8ELi1ELi1ELi2EEEENST_IJLi2ELi1ELi128ELi1EEEENST_IJLi1ELi2ELi0ELi3EEEES22_NST_IJLi4ELi1ELi1ELi2EEEES22_NST_IJLi1ELi1ELi1ELi2EEEES20_S21_S22_S22_S23_S22_S24_NST_IJLi0ELi1ELi2ELi3ELi4ELi5EEEELi5ELi4EEEDF16_NS5_IJPKDF16_EEEDF16_S8_S8_S9_NSB_INS5_IJSE_SG_SI_SI_SI_SG_SG_SK_SK_SK_SG_SN_SN_SP_SP_SR_SG_SG_NSQ_INS5_IJiNS_17integral_constantIiLi128EEEEEELb0EEENSF_INS2A_IiLi2EEEEEEEENS5_IJSU_SV_SW_SX_SY_SZ_S10_S11_S12_S13_S14_S15_S16_S17_S18_S19_S1A_NST_IJLi23EEEES1J_NST_IJLi24EEEEEEENS5_IJS1C_S10_S11_S12_S13_S14_S1D_S1E_S1F_S1G_S1H_S17_S18_S1A_S19_S1I_S1J_NST_IJLi26EEEENST_IJLi27ELi28EEEENST_IJLi29EEEEEEENST_IJLi26ELi27ELi28ELi29EEEElEENSB_INS5_IJSR_SP_SP_SR_SG_SG_S2D_S2F_EEENS5_IJSU_SV_SW_SY_SX_SZ_S11_S10_EEENS5_IJS1P_SX_SY_S1Q_S11_S12_NST_IJLi9ELi10EEEES1D_EEENST_IJLi8ELi9ELi10ELi11EEEElEENS5_IJNSB_INS5_IJSK_SP_SP_NSQ_INS5_IJiS2E_NS2A_IiLi64EEEEEELb0EEES2Y_EEENS5_IJSU_SV_SW_SX_SY_EEENS5_IJS1P_SX_SY_NST_IJLi5ELi6ELi7EEEENST_IJLi8ELi9ELi10EEEEEEENST_IJLi5ELi6ELi7ELi8ELi9ELi10EEEElEEEEES35_NS_31BlockToCTileMap_M00_N00_M01_N01ILi128ELi128ES1Y_Lb0EEENS1_30ComputePtrOffsetOfStridedBatchILi1ELi1ELi1EvEELb1ELb1EEEvPKT0_S3D_T1_PT2_T3_T4_T5_iT6_T7_T8_T9_T10_T11_: ; @_ZN2ck16tensor_operation6device12_GLOBAL__N_137kernel_grouped_conv_fwd_dl_multiple_dINS_32GridwiseGemmDlMultipleD_km_kn_mnILi256EDF16_fNS_5TupleIJDF16_EEEDF16_NS0_12element_wise11PassThroughES8_NS7_7AddReluELNS_25InMemoryDataOperationEnumE0ENS_16TensorDescriptorINS5_IJNS_5EmbedINS5_IJiiiiiEEESD_Lb0EEENS_11PassThroughIiEENS_3PadIiiiLb0EEESI_SI_SG_SG_NSC_INS5_IJiiEEESJ_Lb0EEESK_SK_SG_NS_23Merge_v2_magic_divisionINS5_IJiiiiEEEEESN_NS_8RightPadIiiLb0EEESP_NS_7UnMergeISJ_Lb0EEESG_EEENS5_IJNS_8SequenceIJLi0EEEENST_IJLi1EEEENST_IJLi2EEEENST_IJLi3EEEENST_IJLi4EEEENST_IJLi5EEEENST_IJLi6EEEENST_IJLi7EEEENST_IJLi8EEEENST_IJLi9EEEENST_IJLi10EEEENST_IJLi11ELi13ELi15ELi17EEEENST_IJLi12ELi14ELi16ELi18EEEENST_IJLi19EEEENST_IJLi20EEEENST_IJLi22EEEENST_IJLi21EEEEEEENS5_IJNST_IJLi1ELi2ELi3ELi4ELi5EEEES10_S11_S12_S13_S14_NST_IJLi11EEEENST_IJLi12ELi13EEEENST_IJLi14ELi15EEEENST_IJLi16ELi17EEEENST_IJLi18EEEES17_S18_S1A_S19_NST_IJLi23ELi24EEEENST_IJLi25EEEEEEENST_IJLi23ELi25ELi24EEEElEENSB_INS5_IJSR_SP_SP_SR_SG_EEENS5_IJSU_SV_SW_SY_SX_EEENS5_IJNST_IJLi1ELi2EEEESX_SY_NST_IJLi5ELi6EEEES11_EEENST_IJLi5ELi7ELi6EEEElEENSB_INS5_IJSK_SP_SP_EEENS5_IJSU_SV_SW_EEENS5_IJS1P_SX_SY_EEENST_IJLi3ELi4EEEElEELi128ELi128ELi16ELi2ELi4ELi4ELi1ENST_IJLi8ELi2EEEES1Z_NST_IJLi8ELi1ELi1ELi2EEEENST_IJLi2ELi1ELi128ELi1EEEENST_IJLi1ELi2ELi0ELi3EEEES22_NST_IJLi4ELi1ELi1ELi2EEEES22_NST_IJLi1ELi1ELi1ELi2EEEES20_S21_S22_S22_S23_S22_S24_NST_IJLi0ELi1ELi2ELi3ELi4ELi5EEEELi5ELi4EEEDF16_NS5_IJPKDF16_EEEDF16_S8_S8_S9_NSB_INS5_IJSE_SG_SI_SI_SI_SG_SG_SK_SK_SK_SG_SN_SN_SP_SP_SR_SG_SG_NSQ_INS5_IJiNS_17integral_constantIiLi128EEEEEELb0EEENSF_INS2A_IiLi2EEEEEEEENS5_IJSU_SV_SW_SX_SY_SZ_S10_S11_S12_S13_S14_S15_S16_S17_S18_S19_S1A_NST_IJLi23EEEES1J_NST_IJLi24EEEEEEENS5_IJS1C_S10_S11_S12_S13_S14_S1D_S1E_S1F_S1G_S1H_S17_S18_S1A_S19_S1I_S1J_NST_IJLi26EEEENST_IJLi27ELi28EEEENST_IJLi29EEEEEEENST_IJLi26ELi27ELi28ELi29EEEElEENSB_INS5_IJSR_SP_SP_SR_SG_SG_S2D_S2F_EEENS5_IJSU_SV_SW_SY_SX_SZ_S11_S10_EEENS5_IJS1P_SX_SY_S1Q_S11_S12_NST_IJLi9ELi10EEEES1D_EEENST_IJLi8ELi9ELi10ELi11EEEElEENS5_IJNSB_INS5_IJSK_SP_SP_NSQ_INS5_IJiS2E_NS2A_IiLi64EEEEEELb0EEES2Y_EEENS5_IJSU_SV_SW_SX_SY_EEENS5_IJS1P_SX_SY_NST_IJLi5ELi6ELi7EEEENST_IJLi8ELi9ELi10EEEEEEENST_IJLi5ELi6ELi7ELi8ELi9ELi10EEEElEEEEES35_NS_31BlockToCTileMap_M00_N00_M01_N01ILi128ELi128ES1Y_Lb0EEENS1_30ComputePtrOffsetOfStridedBatchILi1ELi1ELi1EvEELb1ELb1EEEvPKT0_S3D_T1_PT2_T3_T4_T5_iT6_T7_T8_T9_T10_T11_
; %bb.0:
	s_mov_b64 s[82:83], s[2:3]
	s_mov_b64 s[80:81], s[0:1]
	s_add_u32 s80, s80, s7
	s_load_dwordx4 s[44:47], s[4:5], 0x0
	s_load_dwordx2 s[74:75], s[4:5], 0x18
	s_load_dword s7, s[4:5], 0x24
	s_load_dwordx4 s[28:31], s[4:5], 0x3c
	s_load_dword s78, s[4:5], 0x4c
	s_load_dword s76, s[4:5], 0x58
	s_load_dwordx4 s[8:11], s[4:5], 0x54
	s_load_dword s77, s[4:5], 0x64
	s_load_dwordx4 s[52:55], s[4:5], 0x60
	s_addc_u32 s81, s81, 0
	s_waitcnt lgkmcnt(0)
	s_abs_i32 s11, s7
	v_cvt_f32_u32_e32 v1, s11
	s_load_dword s53, s[4:5], 0x70
	s_load_dwordx4 s[56:59], s[4:5], 0x6c
	s_load_dword s9, s[4:5], 0x300
	s_load_dwordx2 s[68:69], s[4:5], 0x88
	s_load_dwordx2 s[70:71], s[4:5], 0x98
	;; [unrolled: 1-line block ×3, first 2 shown]
	s_load_dwordx8 s[36:43], s[4:5], 0xb8
	s_load_dwordx4 s[0:3], s[4:5], 0xd8
	v_rcp_iflag_f32_e32 v1, v1
	v_lshrrev_b32_e32 v21, 1, v0
	s_waitcnt lgkmcnt(0)
	s_xor_b32 s3, s9, s7
	s_abs_i32 s7, s9
	v_mul_f32_e32 v1, 0x4f7ffffe, v1
	v_cvt_u32_f32_e32 v1, v1
	s_sub_i32 s9, 0, s11
	s_ashr_i32 s3, s3, 31
	v_lshrrev_b32_e32 v28, 5, v0
	v_readfirstlane_b32 s12, v1
	s_mul_i32 s9, s9, s12
	s_mul_hi_u32 s9, s12, s9
	s_add_i32 s12, s12, s9
	s_mul_hi_u32 s9, s7, s12
	s_mul_i32 s12, s9, s11
	s_sub_i32 s7, s7, s12
	s_add_i32 s12, s9, 1
	s_sub_i32 s13, s7, s11
	s_cmp_ge_u32 s7, s11
	s_cselect_b32 s9, s12, s9
	s_cselect_b32 s7, s13, s7
	s_add_i32 s12, s9, 1
	s_cmp_ge_u32 s7, s11
	s_cselect_b32 s7, s12, s9
	s_xor_b32 s7, s7, s3
	s_sub_i32 s3, s7, s3
	s_abs_i32 s7, s3
	v_cvt_f32_u32_e32 v1, s7
	s_load_dwordx8 s[12:19], s[4:5], 0xec
	s_load_dwordx4 s[60:63], s[4:5], 0x298
	s_load_dwordx4 s[48:51], s[4:5], 0x2ac
	s_sub_i32 s11, 0, s7
	s_abs_i32 s9, s6
	v_rcp_iflag_f32_e32 v1, v1
	s_xor_b32 s3, s6, s3
	s_ashr_i32 s3, s3, 31
	s_load_dwordx4 s[64:67], s[4:5], 0x2c0
	s_load_dwordx8 s[20:27], s[4:5], 0x2d8
	v_mul_f32_e32 v1, 0x4f7ffffe, v1
	v_cvt_u32_f32_e32 v1, v1
	v_lshlrev_b32_e32 v30, 1, v0
	v_lshlrev_b32_e32 v29, 6, v28
	v_and_b32_e32 v31, 0x1f8, v30
	s_waitcnt lgkmcnt(0)
	v_readfirstlane_b32 s15, v1
	s_mul_i32 s11, s11, s15
	s_mul_hi_u32 s11, s15, s11
	s_add_i32 s15, s15, s11
	s_mul_hi_u32 s11, s9, s15
	s_mul_i32 s15, s11, s7
	s_sub_i32 s9, s9, s15
	s_add_i32 s15, s11, 1
	s_sub_i32 s19, s9, s7
	s_cmp_ge_u32 s9, s7
	s_cselect_b32 s11, s15, s11
	s_cselect_b32 s9, s19, s9
	s_add_i32 s15, s11, 1
	s_cmp_ge_u32 s9, s7
	s_cselect_b32 s7, s15, s11
	s_xor_b32 s7, s7, s3
	s_sub_i32 s55, s7, s3
	s_ashr_i32 s57, s55, 31
	s_mul_i32 s3, s20, s57
	s_mul_hi_u32 s7, s20, s55
	s_add_i32 s3, s7, s3
	s_mul_i32 s7, s21, s55
	s_add_i32 s21, s3, s7
	s_mul_i32 s3, s22, s57
	s_mul_hi_u32 s7, s22, s55
	s_mul_i32 s20, s20, s55
	s_add_i32 s3, s7, s3
	s_mul_i32 s7, s23, s55
	s_add_i32 s23, s3, s7
	s_lshl_b64 s[20:21], s[20:21], 1
	s_mul_i32 s22, s22, s55
	s_add_u32 s44, s44, s20
	s_addc_u32 s9, s45, s21
	s_lshl_b64 s[20:21], s[22:23], 1
	s_add_u32 s20, s46, s20
	s_mul_hi_u32 s3, s51, s6
	s_addc_u32 s7, s47, s21
	s_add_i32 s3, s6, s3
	s_lshr_b32 s11, s3, s67
	s_mul_hi_u32 s3, s11, s50
	s_add_i32 s3, s11, s3
	s_lshr_b32 s19, s3, s66
	s_mul_hi_u32 s3, s19, s49
	s_add_i32 s3, s19, s3
	s_lshr_b32 s21, s3, s65
	s_mul_hi_u32 s15, s21, s48
	s_load_dwordx4 s[48:51], s[4:5], 0x10c
	s_load_dword s3, s[4:5], 0x120
	s_waitcnt lgkmcnt(0)
	s_load_dword s51, s[4:5], 0x12c
	s_load_dword s59, s[4:5], 0x13c
	v_lshlrev_b32_e32 v1, 3, v0
	v_and_b32_e32 v33, 8, v1
	s_add_i32 s15, s21, s15
	s_lshr_b32 s22, s15, s64
	s_waitcnt lgkmcnt(0)
	v_mul_lo_u32 v1, s59, v33
	s_load_dword s15, s[4:5], 0x27c
	s_load_dword s23, s[4:5], 0x28c
	s_mul_i32 s33, s11, s63
	s_sub_i32 s6, s6, s33
	v_mul_hi_u32 v2, v1, s18
	s_mul_i32 s33, s19, s62
	s_sub_i32 s43, s11, s33
	s_mul_i32 s11, s21, s61
	v_add_u32_e32 v2, v1, v2
	v_lshrrev_b32_e32 v2, s50, v2
	v_mul_hi_u32 v3, v2, s17
	s_mul_i32 s22, s22, s60
	s_sub_i32 s11, s19, s11
	s_sub_i32 s19, s21, s22
	s_waitcnt lgkmcnt(0)
	s_mul_i32 s19, s19, s15
	s_add_i32 s43, s43, s19
	v_add_u32_e32 v3, v2, v3
	v_lshrrev_b32_e32 v3, s49, v3
	v_lshl_or_b32 v22, s43, 7, v21
	v_mul_lo_u32 v4, v3, s13
	v_mul_hi_u32 v5, v22, s42
	v_mul_lo_u32 v6, v2, s14
	s_load_dwordx2 s[60:61], s[4:5], 0x260
	v_sub_u32_e32 v7, v2, v4
	v_mul_hi_u32 v2, v3, s16
	v_add_u32_e32 v4, v22, v5
	v_lshrrev_b32_e32 v4, s2, v4
	v_mul_hi_u32 v5, v4, s41
	v_add_u32_e32 v2, v3, v2
	v_lshrrev_b32_e32 v8, s48, v2
	v_mul_lo_u32 v2, v8, s12
	v_add_u32_e32 v5, v4, v5
	v_lshrrev_b32_e32 v5, s1, v5
	v_mul_hi_u32 v9, v5, s40
	v_sub_u32_e32 v14, v3, v2
	v_mul_lo_u32 v2, v4, s38
	v_mul_lo_u32 v3, v5, s37
	v_add_u32_e32 v9, v5, v9
	v_lshrrev_b32_e32 v9, s0, v9
	v_mul_lo_u32 v10, v9, s36
	v_sub_u32_e32 v11, v22, v2
	v_sub_u32_e32 v4, v4, v3
	v_mul_lo_u32 v2, v7, s72
	v_mul_lo_u32 v3, v14, s70
	v_sub_u32_e32 v5, v5, v10
	v_sub_u32_e32 v6, v1, v6
	s_and_b32 s45, s9, 0xffff
	v_mad_u64_u32 v[10:11], s[0:1], v11, s73, v[2:3]
	v_mul_lo_u32 v2, v8, s68
	v_mad_u64_u32 v[11:12], s[0:1], v4, s71, v[3:4]
	s_mov_b32 s47, 0x20000
	v_mad_u64_u32 v[12:13], s[0:1], v5, s69, v[2:3]
	v_subrev_u32_e32 v2, s53, v10
	v_subrev_u32_e32 v3, s77, v11
	;; [unrolled: 1-line block ×3, first 2 shown]
	v_mul_lo_u32 v5, v9, s28
	v_mul_lo_u32 v3, v3, s30
	;; [unrolled: 1-line block ×4, first 2 shown]
	v_or_b32_e32 v13, 4, v33
	v_mul_lo_u32 v4, v4, s29
	v_mul_lo_u32 v39, s59, v13
	v_add3_u32 v2, v2, v9, v3
	s_load_dword s0, s[4:5], 0x160
	s_load_dword s1, s[4:5], 0x170
	s_load_dword s22, s[4:5], 0x17c
	s_waitcnt lgkmcnt(0)
	s_load_dword s61, s[4:5], 0x188
	s_load_dword s64, s[4:5], 0x198
	;; [unrolled: 1-line block ×3, first 2 shown]
	s_load_dwordx2 s[40:41], s[4:5], 0x1d0
	s_load_dword s28, s[4:5], 0x148
	v_add3_u32 v9, v2, v5, v4
	v_mul_hi_u32 v2, v39, s18
	s_lshl_b32 s46, s0, 1
	v_lshlrev_b32_e32 v3, 1, v9
	s_mul_i32 s11, s11, s23
	v_add_u32_e32 v2, v39, v2
	v_lshrrev_b32_e32 v13, s50, v2
	v_mul_hi_u32 v2, v13, s17
	v_mul_lo_u32 v15, v13, s14
	s_add_i32 s42, s6, s11
	v_lshl_or_b32 v23, s42, 7, v21
	v_add_u32_e32 v2, v13, v2
	v_lshrrev_b32_e32 v16, s49, v2
	v_mul_hi_u32 v17, v16, s16
	v_sub_u32_e32 v40, v39, v15
	v_mul_lo_u32 v15, v16, s13
	buffer_load_dwordx4 v[2:5], v3, s[44:47], 0 offen
	v_add_u32_e32 v17, v16, v17
	v_lshrrev_b32_e32 v34, s48, v17
	v_mul_lo_u32 v17, v34, s12
	v_sub_u32_e32 v36, v13, v15
	v_sub_u32_e32 v7, v36, v7
	v_sub_u32_e32 v8, v34, v8
	v_sub_u32_e32 v35, v16, v17
	v_mul_lo_u32 v24, v8, s68
	v_mul_lo_u32 v25, v7, s72
	v_sub_u32_e32 v7, v35, v14
	v_mul_lo_u32 v26, v7, s70
	v_sub_u32_e32 v6, v40, v6
	v_mul_lo_u32 v7, v24, s29
	v_mul_lo_u32 v8, v25, s31
	;; [unrolled: 1-line block ×4, first 2 shown]
	s_waitcnt lgkmcnt(0)
	v_mul_lo_u32 v27, s64, v33
	v_mul_lo_u32 v38, v23, s1
	v_add3_u32 v6, v8, v6, v7
	v_add3_u32 v37, v6, v13, v9
	v_lshlrev_b32_e32 v6, 1, v37
	buffer_load_dwordx4 v[6:9], v6, s[44:47], 0 offen
	v_add_u32_e32 v17, v38, v27
	s_and_b32 s21, s7, 0xffff
	s_lshl_b32 s38, s2, 1
	s_mov_b32 s36, s20
	s_mov_b32 s37, s21
	;; [unrolled: 1-line block ×3, first 2 shown]
	v_lshlrev_b32_e32 v13, 1, v17
	buffer_load_dwordx4 v[13:16], v13, s[36:39], 0 offen
	s_lshl_b32 s62, s64, 2
	v_add_lshl_u32 v17, v17, s62, 1
	buffer_load_dwordx4 v[17:20], v17, s[36:39], 0 offen
	s_load_dword s11, s[4:5], 0x22c
	s_load_dword s15, s[4:5], 0x238
	;; [unrolled: 1-line block ×4, first 2 shown]
	s_load_dwordx2 s[36:37], s[4:5], 0x210
	s_load_dwordx2 s[34:35], s[4:5], 0x220
	s_waitcnt lgkmcnt(0)
	s_sub_i32 s37, s56, s58
	v_cmp_gt_i32_e64 s[0:1], s51, v1
	v_cmp_gt_i32_e32 vcc, s3, v22
	v_cmp_gt_i32_e64 s[2:3], s37, v10
	s_mov_b32 s39, s17
	s_and_b64 s[2:3], s[2:3], s[0:1]
	v_cmp_le_i32_e64 s[0:1], s53, v10
	s_sub_i32 s17, s52, s54
	s_and_b64 s[6:7], s[2:3], s[0:1]
	v_cmp_le_i32_e64 s[0:1], s77, v11
	v_cmp_gt_i32_e64 s[2:3], s17, v11
	s_and_b64 s[0:1], s[0:1], s[2:3]
	s_sub_i32 s10, s8, s10
	s_and_b64 s[6:7], s[6:7], s[0:1]
	v_cmp_le_i32_e64 s[0:1], s76, v12
	v_cmp_gt_i32_e64 s[2:3], s10, v12
	s_and_b64 s[0:1], s[0:1], s[2:3]
	v_sub_u32_e32 v29, v31, v29
	v_lshlrev_b32_e32 v0, 2, v0
	s_and_b64 s[0:1], s[6:7], s[0:1]
	v_and_or_b32 v29, v0, 4, v29
	v_lshlrev_b32_e32 v0, 3, v28
	s_and_b64 s[0:1], vcc, s[0:1]
	v_add_u32_e32 v31, v10, v25
	v_and_or_b32 v28, v30, 4, v0
	v_cmp_gt_i32_e64 s[6:7], s37, v31
	v_add_u32_e32 v30, v11, v26
	v_cmp_le_i32_e64 s[2:3], s53, v31
	v_add_u32_e32 v32, v12, v24
	buffer_store_dword v39, off, s[80:83], 0 offset:12 ; 4-byte Folded Spill
	s_mov_b32 s63, 0
	s_mov_b32 s23, s47
	s_sub_i32 s28, s28, 32
	s_mul_i32 s54, s59, 12
	s_lshl_b32 s52, s59, 2
	s_lshl_b32 s56, s64, 5
	;; [unrolled: 1-line block ×3, first 2 shown]
	s_sub_i32 s65, 0, s14
	v_mov_b32_e32 v59, 0
	v_mov_b32_e32 v55, 0
	;; [unrolled: 1-line block ×7, first 2 shown]
	s_waitcnt vmcnt(4)
	v_cndmask_b32_e64 v0, 0, v5, s[0:1]
	v_cndmask_b32_e64 v1, 0, v4, s[0:1]
	;; [unrolled: 1-line block ×4, first 2 shown]
	v_cmp_gt_i32_e64 s[0:1], s51, v39
	s_and_b64 s[0:1], s[6:7], s[0:1]
	s_and_b64 s[6:7], s[0:1], s[2:3]
	v_cmp_le_i32_e64 s[0:1], s77, v30
	v_cmp_gt_i32_e64 s[2:3], s17, v30
	s_and_b64 s[0:1], s[0:1], s[2:3]
	s_and_b64 s[6:7], s[6:7], s[0:1]
	v_cmp_le_i32_e64 s[0:1], s76, v32
	v_cmp_gt_i32_e64 s[2:3], s10, v32
	s_and_b64 s[0:1], s[0:1], s[2:3]
	s_and_b64 s[0:1], s[6:7], s[0:1]
	s_and_b64 s[0:1], vcc, s[0:1]
	v_cmp_gt_i32_e64 s[2:3], s61, v27
	v_mov_b32_e32 v69, 0
	v_mov_b32_e32 v71, 0
	v_mov_b32_e32 v60, 0
	v_mov_b32_e32 v61, 0
	v_mov_b32_e32 v62, 0
	s_waitcnt vmcnt(3)
	v_cndmask_b32_e64 v4, 0, v9, s[0:1]
	v_cndmask_b32_e64 v5, 0, v8, s[0:1]
	;; [unrolled: 1-line block ×4, first 2 shown]
	v_cmp_gt_i32_e64 s[0:1], s22, v23
	s_and_b64 s[2:3], s[2:3], s[0:1]
	v_add_u32_e32 v8, s62, v27
	buffer_store_dword v8, off, s[80:83], 0 offset:8 ; 4-byte Folded Spill
	s_waitcnt vmcnt(3)
	v_cndmask_b32_e64 v9, 0, v16, s[2:3]
	v_cndmask_b32_e64 v10, 0, v15, s[2:3]
	v_cndmask_b32_e64 v11, 0, v14, s[2:3]
	v_cndmask_b32_e64 v12, 0, v13, s[2:3]
	v_cmp_gt_i32_e64 s[2:3], s61, v8
	v_lshlrev_b32_e32 v8, 2, v21
	s_and_b64 s[2:3], s[2:3], s[0:1]
	v_lshl_or_b32 v8, v33, 9, v8
	s_waitcnt vmcnt(2)
	v_cndmask_b32_e64 v13, 0, v20, s[2:3]
	v_cndmask_b32_e64 v14, 0, v19, s[2:3]
	v_cndmask_b32_e64 v15, 0, v18, s[2:3]
	v_cndmask_b32_e64 v16, 0, v17, s[2:3]
	ds_write2st64_b32 v8, v2, v3 offset1:2
	ds_write2st64_b32 v8, v1, v0 offset0:4 offset1:6
	ds_write2st64_b32 v8, v6, v7 offset0:8 offset1:10
	;; [unrolled: 1-line block ×7, first 2 shown]
	v_or_b32_e32 v0, 36, v33
	v_mul_lo_u32 v4, s64, v0
	v_or_b32_e32 v1, 32, v33
	v_mul_lo_u32 v5, s64, v1
	;; [unrolled: 2-line block ×4, first 2 shown]
	buffer_store_dword v4, off, s[80:83], 0 offset:16 ; 4-byte Folded Spill
	v_lshlrev_b32_e32 v4, 1, v4
	v_mul_lo_u32 v3, s59, v3
	v_mul_lo_u32 v0, s59, v0
	;; [unrolled: 1-line block ×4, first 2 shown]
	buffer_store_dword v28, off, s[80:83], 0 offset:148 ; 4-byte Folded Spill
	buffer_store_dword v29, off, s[80:83], 0 offset:144 ; 4-byte Folded Spill
	buffer_store_dword v33, off, s[80:83], 0 offset:152 ; 4-byte Folded Spill
	buffer_store_dword v4, off, s[80:83], 0 offset:112 ; 4-byte Folded Spill
	buffer_store_dword v38, off, s[80:83], 0 offset:156 ; 4-byte Folded Spill
	v_lshlrev_b32_e32 v4, 1, v5
	buffer_store_dword v4, off, s[80:83], 0 offset:116 ; 4-byte Folded Spill
	v_lshlrev_b32_e32 v4, 1, v10
	buffer_store_dword v4, off, s[80:83], 0 offset:120 ; 4-byte Folded Spill
	v_lshlrev_b32_e32 v4, 1, v15
	s_mov_b32 s22, s38
	v_lshlrev_b32_e32 v6, 2, v28
	v_lshlrev_b32_e32 v7, 2, v29
	s_mul_i32 s38, s64, 12
	v_lshlrev_b32_e32 v16, 1, v38
	buffer_store_dword v5, off, s[80:83], 0 offset:20 ; 4-byte Folded Spill
	buffer_store_dword v4, off, s[80:83], 0 offset:124 ; 4-byte Folded Spill
	s_lshl_b32 s64, s59, 5
	buffer_store_dword v0, off, s[80:83], 0 offset:132 ; 4-byte Folded Spill
	v_mov_b32_e32 v4, v0
	buffer_store_dword v1, off, s[80:83], 0 offset:136 ; 4-byte Folded Spill
	v_mov_b32_e32 v5, v1
	v_mov_b32_e32 v0, v2
	;; [unrolled: 1-line block ×55, first 2 shown]
	s_mov_b32 s66, 0
	buffer_store_dword v2, off, s[80:83], 0 offset:140 ; 4-byte Folded Spill
	buffer_store_dword v3, off, s[80:83], 0 offset:128 ; 4-byte Folded Spill
.LBB9_1:                                ; =>This Inner Loop Header: Depth=1
	v_mul_hi_u32 v2, s18, v5
	buffer_store_dword v1, off, s[80:83], 0 offset:40 ; 4-byte Folded Spill
	buffer_store_dword v0, off, s[80:83], 0 offset:4 ; 4-byte Folded Spill
	;; [unrolled: 1-line block ×4, first 2 shown]
	buffer_store_dword v16, off, s[80:83], 0 ; 4-byte Folded Spill
	buffer_store_dword v15, off, s[80:83], 0 offset:28 ; 4-byte Folded Spill
	buffer_store_dword v10, off, s[80:83], 0 offset:24 ; 4-byte Folded Spill
	v_mul_hi_u32 v0, s18, v1
	buffer_load_dword v1, off, s[80:83], 0 offset:4 ; 4-byte Folded Reload
	s_add_i32 s66, s66, 32
	buffer_store_dword v2, off, s[80:83], 0 offset:48 ; 4-byte Folded Spill
	v_mul_hi_u32 v2, s18, v4
	buffer_store_dword v2, off, s[80:83], 0 offset:44 ; 4-byte Folded Spill
	buffer_load_dword v2, off, s[80:83], 0 offset:128 ; 4-byte Folded Reload
	s_waitcnt vmcnt(3)
	v_mul_hi_u32 v1, s18, v1
	s_waitcnt vmcnt(0)
	v_add_u32_e32 v2, s63, v2
	v_add_u32_e32 v0, v2, v0
	v_lshrrev_b32_e32 v0, s50, v0
	v_mul_hi_u32 v5, v0, s39
	v_mul_lo_u32 v3, s65, v0
	v_cmp_gt_i32_e64 s[2:3], s51, v2
	v_add_u32_e32 v5, v0, v5
	v_lshrrev_b32_e32 v5, s49, v5
	v_mul_hi_u32 v12, v5, s16
	v_mul_lo_u32 v11, v5, s13
	v_add_u32_e32 v4, v2, v3
	v_sub_u32_e32 v3, v3, v40
	v_add_u32_e32 v12, v5, v12
	v_lshrrev_b32_e32 v12, s48, v12
	v_mul_lo_u32 v13, v12, s12
	v_sub_u32_e32 v11, v0, v11
	v_sub_u32_e32 v0, v11, v36
	;; [unrolled: 1-line block ×5, first 2 shown]
	v_mul_lo_u32 v0, v0, s72
	v_mul_lo_u32 v13, v13, s70
	;; [unrolled: 1-line block ×3, first 2 shown]
	v_add_u32_e32 v3, v2, v3
	v_add_u32_e32 v17, v0, v31
	v_mul_lo_u32 v0, v0, s31
	v_mul_lo_u32 v3, v3, s78
	v_add_u32_e32 v19, v13, v30
	v_add_u32_e32 v20, v14, v32
	v_mul_lo_u32 v14, v14, s29
	v_mul_lo_u32 v13, v13, s30
	v_add3_u32 v0, v3, v37, v0
	v_cmp_gt_i32_e64 s[8:9], s37, v17
	v_cmp_le_i32_e64 s[6:7], s53, v17
	v_add3_u32 v3, v0, v14, v13
	v_lshlrev_b32_e32 v0, 1, v3
	buffer_load_dwordx4 v[33:36], v0, s[44:47], 0 offen
	s_and_b64 s[2:3], s[8:9], s[2:3]
	s_and_b64 s[8:9], s[2:3], s[6:7]
	v_cmp_le_i32_e64 s[2:3], s77, v19
	v_cmp_gt_i32_e64 s[6:7], s17, v19
	s_and_b64 s[2:3], s[2:3], s[6:7]
	s_and_b64 s[8:9], s[8:9], s[2:3]
	v_cmp_le_i32_e64 s[2:3], s76, v20
	v_cmp_gt_i32_e64 s[6:7], s10, v20
	s_and_b64 s[2:3], s[2:3], s[6:7]
	s_and_b64 s[2:3], s[2:3], s[8:9]
	s_and_b64 s[2:3], vcc, s[2:3]
	s_waitcnt vmcnt(0)
	v_cndmask_b32_e64 v0, 0, v36, s[2:3]
	buffer_store_dword v0, off, s[80:83], 0 offset:52 ; 4-byte Folded Spill
	v_cndmask_b32_e64 v0, 0, v35, s[2:3]
	buffer_store_dword v0, off, s[80:83], 0 offset:56 ; 4-byte Folded Spill
	buffer_load_dword v0, off, s[80:83], 0 offset:140 ; 4-byte Folded Reload
	v_cndmask_b32_e64 v32, 0, v34, s[2:3]
	v_cndmask_b32_e64 v33, 0, v33, s[2:3]
	s_waitcnt vmcnt(0)
	v_add_u32_e32 v2, s63, v0
	v_add_u32_e32 v0, v2, v1
	v_lshrrev_b32_e32 v13, s50, v0
	buffer_load_dword v0, off, s[80:83], 0 offset:124 ; 4-byte Folded Reload
	v_mad_u64_u32 v[30:31], s[2:3], s65, v13, v[2:3]
	v_cmp_gt_i32_e64 s[2:3], s51, v2
	v_mul_hi_u32 v1, v13, s39
	v_sub_u32_e32 v4, v30, v4
	v_mul_lo_u32 v4, v4, s78
	v_add_u32_e32 v1, v13, v1
	v_lshrrev_b32_e32 v14, s49, v1
	v_mul_lo_u32 v1, v14, s13
	v_sub_u32_e32 v34, v13, v1
	v_mul_hi_u32 v1, v14, s16
	v_sub_u32_e32 v11, v34, v11
	v_mul_lo_u32 v11, v11, s72
	v_add_u32_e32 v1, v14, v1
	v_lshrrev_b32_e32 v1, s48, v1
	v_mul_lo_u32 v13, v1, s12
	v_sub_u32_e32 v12, v1, v12
	v_mul_lo_u32 v12, v12, s68
	v_add_u32_e32 v36, v11, v17
	v_sub_u32_e32 v35, v14, v13
	v_sub_u32_e32 v5, v35, v5
	v_mul_lo_u32 v5, v5, s70
	v_add_u32_e32 v38, v12, v20
	v_mul_lo_u32 v12, v12, s29
	v_mul_lo_u32 v11, v11, s31
	v_add_u32_e32 v37, v5, v19
	v_mul_lo_u32 v5, v5, s30
	v_cmp_gt_i32_e64 s[8:9], s37, v36
	v_add3_u32 v4, v11, v4, v12
	v_cmp_le_i32_e64 s[6:7], s53, v36
	v_add3_u32 v9, v4, v3, v5
	v_lshlrev_b32_e32 v3, 1, v9
	buffer_load_dwordx4 v[43:46], v3, s[44:47], 0 offen
	s_and_b64 s[2:3], s[8:9], s[2:3]
	s_and_b64 s[8:9], s[2:3], s[6:7]
	v_cmp_le_i32_e64 s[2:3], s77, v37
	v_cmp_gt_i32_e64 s[6:7], s17, v37
	s_and_b64 s[2:3], s[2:3], s[6:7]
	s_and_b64 s[8:9], s[8:9], s[2:3]
	v_cmp_le_i32_e64 s[2:3], s76, v38
	v_cmp_gt_i32_e64 s[6:7], s10, v38
	s_and_b64 s[2:3], s[2:3], s[6:7]
	s_and_b64 s[2:3], s[2:3], s[8:9]
	s_and_b64 s[2:3], vcc, s[2:3]
	s_waitcnt vmcnt(1)
	v_add_u32_e32 v2, v0, v16
	buffer_load_dword v0, off, s[80:83], 0 offset:120 ; 4-byte Folded Reload
	buffer_load_dwordx4 v[47:50], v2, s[20:23], 0 offen
	s_waitcnt vmcnt(2)
	v_cndmask_b32_e64 v11, 0, v46, s[2:3]
	v_cndmask_b32_e64 v12, 0, v45, s[2:3]
	;; [unrolled: 1-line block ×4, first 2 shown]
	v_cmp_gt_i32_e64 s[2:3], s61, v15
	s_and_b64 s[2:3], s[0:1], s[2:3]
	s_waitcnt vmcnt(1)
	v_add_u32_e32 v2, v0, v16
	buffer_load_dwordx4 v[51:54], v2, s[20:23], 0 offen
	s_waitcnt vmcnt(0) lgkmcnt(0)
	s_barrier
	ds_read_b128 v[119:122], v6
	ds_read_b128 v[123:126], v7 offset:16384
	ds_read_b128 v[19:22], v7 offset:16640
	ds_read_b128 v[2:5], v6 offset:256
	v_cndmask_b32_e64 v44, 0, v50, s[2:3]
	v_cndmask_b32_e64 v45, 0, v49, s[2:3]
	;; [unrolled: 1-line block ×4, first 2 shown]
	v_cmp_gt_i32_e64 s[2:3], s61, v10
	s_and_b64 s[2:3], s[0:1], s[2:3]
	s_waitcnt lgkmcnt(2)
	v_dot2_f32_f16 v14, v119, v123, v118
	v_dot2_f32_f16 v17, v119, v124, v117
	;; [unrolled: 1-line block ×9, first 2 shown]
	s_waitcnt lgkmcnt(1)
	v_dot2_f32_f16 v109, v119, v20, v109
	v_dot2_f32_f16 v107, v119, v21, v107
	;; [unrolled: 1-line block ×12, first 2 shown]
	s_waitcnt lgkmcnt(0)
	v_dot2_f32_f16 v79, v2, v123, v79
	v_dot2_f32_f16 v78, v2, v124, v78
	;; [unrolled: 1-line block ×33, first 2 shown]
	ds_read_b128 v[71:74], v7 offset:16896
	v_cndmask_b32_e64 v48, 0, v54, s[2:3]
	v_cndmask_b32_e64 v49, 0, v53, s[2:3]
	;; [unrolled: 1-line block ×3, first 2 shown]
	v_dot2_f32_f16 v52, v120, v125, v112
	v_dot2_f32_f16 v53, v120, v126, v111
	;; [unrolled: 1-line block ×7, first 2 shown]
	ds_read_b128 v[84:87], v6 offset:512
	v_dot2_f32_f16 v119, v4, v20, v57
	v_dot2_f32_f16 v120, v4, v21, v56
	;; [unrolled: 1-line block ×3, first 2 shown]
	ds_read_b128 v[2:5], v7 offset:17152
	ds_read_b128 v[19:22], v6 offset:768
	s_waitcnt lgkmcnt(2)
	v_dot2_f32_f16 v14, v84, v71, v14
	v_dot2_f32_f16 v17, v84, v72, v17
	;; [unrolled: 1-line block ×16, first 2 shown]
	s_waitcnt lgkmcnt(1)
	v_dot2_f32_f16 v108, v84, v2, v108
	v_dot2_f32_f16 v109, v84, v3, v109
	v_dot2_f32_f16 v107, v84, v4, v107
	v_dot2_f32_f16 v84, v84, v5, v105
	v_dot2_f32_f16 v102, v85, v2, v102
	v_dot2_f32_f16 v101, v85, v3, v101
	v_dot2_f32_f16 v99, v85, v4, v99
	v_dot2_f32_f16 v85, v85, v5, v97
	v_dot2_f32_f16 v94, v86, v2, v94
	v_dot2_f32_f16 v93, v86, v3, v93
	v_dot2_f32_f16 v92, v86, v4, v92
	v_dot2_f32_f16 v86, v86, v5, v88
	v_dot2_f32_f16 v88, v87, v2, v110
	v_dot2_f32_f16 v97, v87, v3, v111
	v_dot2_f32_f16 v105, v87, v4, v112
	v_dot2_f32_f16 v87, v87, v5, v113
	ds_read_b128 v[52:55], v6 offset:1024
	s_waitcnt lgkmcnt(1)
	v_dot2_f32_f16 v79, v19, v71, v79
	v_dot2_f32_f16 v78, v19, v72, v78
	;; [unrolled: 1-line block ×16, first 2 shown]
	ds_read_b128 v[56:59], v7 offset:17408
	v_dot2_f32_f16 v70, v19, v2, v70
	v_dot2_f32_f16 v68, v19, v3, v68
	;; [unrolled: 1-line block ×16, first 2 shown]
	ds_read_b128 v[2:5], v7 offset:17664
	ds_read_b128 v[19:22], v6 offset:1280
	s_waitcnt lgkmcnt(2)
	v_dot2_f32_f16 v14, v52, v56, v14
	v_dot2_f32_f16 v17, v52, v57, v17
	;; [unrolled: 1-line block ×16, first 2 shown]
	s_waitcnt lgkmcnt(1)
	v_dot2_f32_f16 v108, v52, v2, v108
	v_dot2_f32_f16 v109, v52, v3, v109
	;; [unrolled: 1-line block ×16, first 2 shown]
	ds_read_b128 v[52:55], v6 offset:1536
	s_waitcnt lgkmcnt(1)
	v_dot2_f32_f16 v79, v19, v56, v79
	v_dot2_f32_f16 v78, v19, v57, v78
	;; [unrolled: 1-line block ×16, first 2 shown]
	ds_read_b128 v[56:59], v7 offset:17920
	v_dot2_f32_f16 v70, v19, v2, v70
	v_dot2_f32_f16 v68, v19, v3, v68
	;; [unrolled: 1-line block ×16, first 2 shown]
	ds_read_b128 v[2:5], v7 offset:18176
	ds_read_b128 v[19:22], v6 offset:1792
	s_waitcnt lgkmcnt(2)
	v_dot2_f32_f16 v14, v52, v56, v14
	v_dot2_f32_f16 v17, v52, v57, v17
	;; [unrolled: 1-line block ×16, first 2 shown]
	s_waitcnt lgkmcnt(1)
	v_dot2_f32_f16 v108, v52, v2, v108
	v_dot2_f32_f16 v109, v52, v3, v109
	;; [unrolled: 1-line block ×16, first 2 shown]
	ds_read_b128 v[52:55], v6 offset:2048
	s_waitcnt lgkmcnt(1)
	v_dot2_f32_f16 v79, v19, v56, v79
	v_dot2_f32_f16 v78, v19, v57, v78
	;; [unrolled: 1-line block ×16, first 2 shown]
	ds_read_b128 v[56:59], v7 offset:18432
	v_dot2_f32_f16 v70, v19, v2, v70
	v_dot2_f32_f16 v68, v19, v3, v68
	;; [unrolled: 1-line block ×16, first 2 shown]
	ds_read_b128 v[2:5], v7 offset:18688
	ds_read_b128 v[19:22], v6 offset:2304
	s_waitcnt lgkmcnt(2)
	v_dot2_f32_f16 v14, v52, v56, v14
	v_dot2_f32_f16 v17, v52, v57, v17
	;; [unrolled: 1-line block ×16, first 2 shown]
	s_waitcnt lgkmcnt(1)
	v_dot2_f32_f16 v108, v52, v2, v108
	v_dot2_f32_f16 v109, v52, v3, v109
	;; [unrolled: 1-line block ×16, first 2 shown]
	ds_read_b128 v[52:55], v6 offset:2560
	s_waitcnt lgkmcnt(1)
	v_dot2_f32_f16 v79, v19, v56, v79
	v_dot2_f32_f16 v78, v19, v57, v78
	;; [unrolled: 1-line block ×16, first 2 shown]
	ds_read_b128 v[56:59], v7 offset:18944
	v_dot2_f32_f16 v70, v19, v2, v70
	v_dot2_f32_f16 v68, v19, v3, v68
	v_dot2_f32_f16 v66, v19, v4, v66
	v_dot2_f32_f16 v64, v19, v5, v64
	v_dot2_f32_f16 v63, v20, v2, v63
	v_dot2_f32_f16 v62, v20, v3, v62
	v_dot2_f32_f16 v61, v20, v4, v61
	v_dot2_f32_f16 v60, v20, v5, v60
	v_dot2_f32_f16 v89, v21, v2, v89
	v_dot2_f32_f16 v90, v21, v3, v90
	v_dot2_f32_f16 v91, v21, v4, v91
	v_dot2_f32_f16 v114, v21, v5, v114
	v_dot2_f32_f16 v80, v22, v2, v80
	v_dot2_f32_f16 v81, v22, v3, v81
	v_dot2_f32_f16 v82, v22, v4, v82
	v_dot2_f32_f16 v83, v22, v5, v83
	ds_read_b128 v[2:5], v7 offset:19200
	ds_read_b128 v[19:22], v6 offset:2816
	s_waitcnt lgkmcnt(2)
	v_dot2_f32_f16 v14, v52, v56, v14
	v_dot2_f32_f16 v17, v52, v57, v17
	v_dot2_f32_f16 v23, v52, v58, v23
	v_dot2_f32_f16 v24, v52, v59, v24
	v_dot2_f32_f16 v25, v53, v56, v25
	v_dot2_f32_f16 v26, v53, v57, v26
	v_dot2_f32_f16 v115, v53, v58, v115
	v_dot2_f32_f16 v116, v53, v59, v116
	v_dot2_f32_f16 v117, v54, v56, v117
	v_dot2_f32_f16 v106, v54, v57, v106
	v_dot2_f32_f16 v104, v54, v58, v104
	v_dot2_f32_f16 v103, v54, v59, v103
	v_dot2_f32_f16 v100, v55, v56, v100
	v_dot2_f32_f16 v98, v55, v57, v98
	v_dot2_f32_f16 v96, v55, v58, v96
	v_dot2_f32_f16 v95, v55, v59, v95
	s_waitcnt lgkmcnt(1)
	v_dot2_f32_f16 v108, v52, v2, v108
	v_dot2_f32_f16 v109, v52, v3, v109
	;; [unrolled: 1-line block ×16, first 2 shown]
	ds_read_b128 v[52:55], v6 offset:3072
	s_waitcnt lgkmcnt(1)
	v_dot2_f32_f16 v79, v19, v56, v79
	v_dot2_f32_f16 v78, v19, v57, v78
	;; [unrolled: 1-line block ×16, first 2 shown]
	ds_read_b128 v[56:59], v7 offset:19456
	v_dot2_f32_f16 v70, v19, v2, v70
	v_dot2_f32_f16 v68, v19, v3, v68
	;; [unrolled: 1-line block ×16, first 2 shown]
	ds_read_b128 v[2:5], v7 offset:19712
	ds_read_b128 v[19:22], v6 offset:3328
	s_waitcnt lgkmcnt(2)
	v_dot2_f32_f16 v14, v52, v56, v14
	v_dot2_f32_f16 v17, v52, v57, v17
	;; [unrolled: 1-line block ×16, first 2 shown]
	s_waitcnt lgkmcnt(1)
	v_dot2_f32_f16 v108, v52, v2, v108
	v_dot2_f32_f16 v109, v52, v3, v109
	;; [unrolled: 1-line block ×16, first 2 shown]
	ds_read_b128 v[52:55], v6 offset:3584
	s_waitcnt lgkmcnt(1)
	v_dot2_f32_f16 v79, v19, v56, v79
	v_dot2_f32_f16 v78, v19, v57, v78
	v_dot2_f32_f16 v77, v19, v58, v77
	v_dot2_f32_f16 v76, v19, v59, v76
	v_dot2_f32_f16 v75, v20, v56, v75
	v_dot2_f32_f16 v110, v20, v57, v110
	v_dot2_f32_f16 v111, v20, v58, v111
	v_dot2_f32_f16 v112, v20, v59, v112
	v_dot2_f32_f16 v113, v21, v56, v113
	v_dot2_f32_f16 v69, v21, v57, v69
	v_dot2_f32_f16 v67, v21, v58, v67
	v_dot2_f32_f16 v65, v21, v59, v65
	v_dot2_f32_f16 v71, v22, v56, v71
	v_dot2_f32_f16 v72, v22, v57, v72
	v_dot2_f32_f16 v73, v22, v58, v73
	v_dot2_f32_f16 v74, v22, v59, v74
	ds_read_b128 v[56:59], v7 offset:19968
	v_dot2_f32_f16 v70, v19, v2, v70
	v_dot2_f32_f16 v68, v19, v3, v68
	;; [unrolled: 1-line block ×16, first 2 shown]
	ds_read_b128 v[2:5], v7 offset:20224
	ds_read_b128 v[19:22], v6 offset:3840
	s_waitcnt lgkmcnt(2)
	v_dot2_f32_f16 v14, v52, v56, v14
	v_dot2_f32_f16 v17, v52, v57, v17
	;; [unrolled: 1-line block ×16, first 2 shown]
	s_waitcnt lgkmcnt(1)
	v_dot2_f32_f16 v108, v52, v2, v108
	v_dot2_f32_f16 v109, v52, v3, v109
	;; [unrolled: 1-line block ×16, first 2 shown]
	ds_read_b128 v[52:55], v6 offset:4096
	s_waitcnt lgkmcnt(1)
	v_dot2_f32_f16 v79, v19, v56, v79
	v_dot2_f32_f16 v78, v19, v57, v78
	;; [unrolled: 1-line block ×16, first 2 shown]
	ds_read_b128 v[56:59], v7 offset:20480
	v_dot2_f32_f16 v70, v19, v2, v70
	v_dot2_f32_f16 v68, v19, v3, v68
	;; [unrolled: 1-line block ×16, first 2 shown]
	ds_read_b128 v[2:5], v7 offset:20736
	ds_read_b128 v[19:22], v6 offset:4352
	s_waitcnt lgkmcnt(2)
	v_dot2_f32_f16 v14, v52, v56, v14
	v_dot2_f32_f16 v17, v52, v57, v17
	;; [unrolled: 1-line block ×16, first 2 shown]
	s_waitcnt lgkmcnt(1)
	v_dot2_f32_f16 v108, v52, v2, v108
	v_dot2_f32_f16 v109, v52, v3, v109
	;; [unrolled: 1-line block ×16, first 2 shown]
	ds_read_b128 v[52:55], v6 offset:4608
	s_waitcnt lgkmcnt(1)
	v_dot2_f32_f16 v79, v19, v56, v79
	v_dot2_f32_f16 v78, v19, v57, v78
	;; [unrolled: 1-line block ×16, first 2 shown]
	ds_read_b128 v[56:59], v7 offset:20992
	v_dot2_f32_f16 v70, v19, v2, v70
	v_dot2_f32_f16 v68, v19, v3, v68
	;; [unrolled: 1-line block ×16, first 2 shown]
	ds_read_b128 v[2:5], v7 offset:21248
	ds_read_b128 v[19:22], v6 offset:4864
	s_waitcnt lgkmcnt(2)
	v_dot2_f32_f16 v14, v52, v56, v14
	v_dot2_f32_f16 v17, v52, v57, v17
	;; [unrolled: 1-line block ×16, first 2 shown]
	s_waitcnt lgkmcnt(1)
	v_dot2_f32_f16 v108, v52, v2, v108
	v_dot2_f32_f16 v109, v52, v3, v109
	;; [unrolled: 1-line block ×16, first 2 shown]
	ds_read_b128 v[52:55], v6 offset:5120
	s_waitcnt lgkmcnt(1)
	v_dot2_f32_f16 v79, v19, v56, v79
	v_dot2_f32_f16 v78, v19, v57, v78
	;; [unrolled: 1-line block ×16, first 2 shown]
	ds_read_b128 v[56:59], v7 offset:21504
	v_dot2_f32_f16 v70, v19, v2, v70
	v_dot2_f32_f16 v68, v19, v3, v68
	;; [unrolled: 1-line block ×16, first 2 shown]
	ds_read_b128 v[2:5], v7 offset:21760
	ds_read_b128 v[19:22], v6 offset:5376
	s_waitcnt lgkmcnt(2)
	v_dot2_f32_f16 v14, v52, v56, v14
	v_dot2_f32_f16 v17, v52, v57, v17
	;; [unrolled: 1-line block ×16, first 2 shown]
	s_waitcnt lgkmcnt(1)
	v_dot2_f32_f16 v108, v52, v2, v108
	v_dot2_f32_f16 v109, v52, v3, v109
	;; [unrolled: 1-line block ×16, first 2 shown]
	ds_read_b128 v[52:55], v6 offset:5632
	s_waitcnt lgkmcnt(1)
	v_dot2_f32_f16 v79, v19, v56, v79
	v_dot2_f32_f16 v78, v19, v57, v78
	;; [unrolled: 1-line block ×16, first 2 shown]
	ds_read_b128 v[56:59], v7 offset:22016
	v_dot2_f32_f16 v70, v19, v2, v70
	v_dot2_f32_f16 v68, v19, v3, v68
	;; [unrolled: 1-line block ×16, first 2 shown]
	ds_read_b128 v[2:5], v7 offset:22272
	ds_read_b128 v[19:22], v6 offset:5888
	s_waitcnt lgkmcnt(2)
	v_dot2_f32_f16 v14, v52, v56, v14
	v_dot2_f32_f16 v17, v52, v57, v17
	;; [unrolled: 1-line block ×16, first 2 shown]
	s_waitcnt lgkmcnt(1)
	v_dot2_f32_f16 v108, v52, v2, v108
	v_dot2_f32_f16 v109, v52, v3, v109
	;; [unrolled: 1-line block ×16, first 2 shown]
	ds_read_b128 v[52:55], v6 offset:6144
	s_waitcnt lgkmcnt(1)
	v_dot2_f32_f16 v79, v19, v56, v79
	v_dot2_f32_f16 v78, v19, v57, v78
	;; [unrolled: 1-line block ×16, first 2 shown]
	ds_read_b128 v[56:59], v7 offset:22528
	v_dot2_f32_f16 v70, v19, v2, v70
	v_dot2_f32_f16 v68, v19, v3, v68
	;; [unrolled: 1-line block ×16, first 2 shown]
	ds_read_b128 v[2:5], v7 offset:22784
	ds_read_b128 v[19:22], v6 offset:6400
	s_waitcnt lgkmcnt(2)
	v_dot2_f32_f16 v14, v52, v56, v14
	v_dot2_f32_f16 v17, v52, v57, v17
	;; [unrolled: 1-line block ×16, first 2 shown]
	s_waitcnt lgkmcnt(1)
	v_dot2_f32_f16 v108, v52, v2, v108
	v_dot2_f32_f16 v109, v52, v3, v109
	;; [unrolled: 1-line block ×16, first 2 shown]
	ds_read_b128 v[52:55], v6 offset:6656
	s_waitcnt lgkmcnt(1)
	v_dot2_f32_f16 v79, v19, v56, v79
	v_dot2_f32_f16 v78, v19, v57, v78
	;; [unrolled: 1-line block ×16, first 2 shown]
	ds_read_b128 v[56:59], v7 offset:23040
	v_dot2_f32_f16 v70, v19, v2, v70
	v_dot2_f32_f16 v68, v19, v3, v68
	;; [unrolled: 1-line block ×16, first 2 shown]
	ds_read_b128 v[2:5], v7 offset:23296
	ds_read_b128 v[19:22], v6 offset:6912
	s_waitcnt lgkmcnt(2)
	v_dot2_f32_f16 v14, v52, v56, v14
	v_dot2_f32_f16 v17, v52, v57, v17
	;; [unrolled: 1-line block ×16, first 2 shown]
	s_waitcnt lgkmcnt(1)
	v_dot2_f32_f16 v108, v52, v2, v108
	v_dot2_f32_f16 v109, v52, v3, v109
	;; [unrolled: 1-line block ×16, first 2 shown]
	ds_read_b128 v[52:55], v6 offset:7168
	s_waitcnt lgkmcnt(1)
	v_dot2_f32_f16 v79, v19, v56, v79
	v_dot2_f32_f16 v78, v19, v57, v78
	v_dot2_f32_f16 v77, v19, v58, v77
	v_dot2_f32_f16 v76, v19, v59, v76
	v_dot2_f32_f16 v75, v20, v56, v75
	v_dot2_f32_f16 v110, v20, v57, v110
	v_dot2_f32_f16 v111, v20, v58, v111
	v_dot2_f32_f16 v112, v20, v59, v112
	v_dot2_f32_f16 v113, v21, v56, v113
	v_dot2_f32_f16 v69, v21, v57, v69
	v_dot2_f32_f16 v67, v21, v58, v67
	v_dot2_f32_f16 v65, v21, v59, v65
	v_dot2_f32_f16 v71, v22, v56, v71
	v_dot2_f32_f16 v72, v22, v57, v72
	v_dot2_f32_f16 v73, v22, v58, v73
	v_dot2_f32_f16 v74, v22, v59, v74
	ds_read_b128 v[56:59], v7 offset:23552
	v_dot2_f32_f16 v70, v19, v2, v70
	v_dot2_f32_f16 v68, v19, v3, v68
	;; [unrolled: 1-line block ×16, first 2 shown]
	ds_read_b128 v[2:5], v7 offset:23808
	ds_read_b128 v[19:22], v6 offset:7424
	s_waitcnt lgkmcnt(2)
	v_dot2_f32_f16 v14, v52, v56, v14
	v_dot2_f32_f16 v17, v52, v57, v17
	;; [unrolled: 1-line block ×16, first 2 shown]
	s_waitcnt lgkmcnt(1)
	v_dot2_f32_f16 v108, v52, v2, v108
	v_dot2_f32_f16 v109, v52, v3, v109
	;; [unrolled: 1-line block ×16, first 2 shown]
	ds_read_b128 v[52:55], v6 offset:7680
	s_waitcnt lgkmcnt(1)
	v_dot2_f32_f16 v79, v19, v56, v79
	v_dot2_f32_f16 v78, v19, v57, v78
	;; [unrolled: 1-line block ×16, first 2 shown]
	ds_read_b128 v[56:59], v7 offset:24064
	v_dot2_f32_f16 v31, v19, v2, v70
	v_dot2_f32_f16 v68, v19, v3, v68
	;; [unrolled: 1-line block ×16, first 2 shown]
	ds_read_b128 v[2:5], v7 offset:24320
	ds_read_b128 v[19:22], v6 offset:7936
	ds_write2st64_b32 v8, v33, v32 offset0:32 offset1:34
	s_waitcnt lgkmcnt(3)
	v_dot2_f32_f16 v88, v52, v57, v17
	v_dot2_f32_f16 v90, v52, v59, v24
	;; [unrolled: 1-line block ×12, first 2 shown]
	s_waitcnt lgkmcnt(2)
	v_dot2_f32_f16 v103, v52, v2, v108
	v_dot2_f32_f16 v105, v52, v4, v107
	;; [unrolled: 1-line block ×10, first 2 shown]
	s_waitcnt lgkmcnt(1)
	v_dot2_f32_f16 v17, v19, v57, v78
	v_dot2_f32_f16 v24, v19, v59, v76
	;; [unrolled: 1-line block ×11, first 2 shown]
	buffer_load_dword v0, off, s[80:83], 0 offset:52 ; 4-byte Folded Reload
	buffer_load_dword v2, off, s[80:83], 0 offset:56 ; 4-byte Folded Reload
	v_cndmask_b32_e64 v51, 0, v51, s[2:3]
	s_waitcnt vmcnt(0)
	ds_write2st64_b32 v8, v2, v0 offset0:36 offset1:38
	ds_write2st64_b32 v8, v43, v13 offset0:40 offset1:42
	;; [unrolled: 1-line block ×7, first 2 shown]
	buffer_load_dword v0, off, s[80:83], 0 offset:136 ; 4-byte Folded Reload
	v_dot2_f32_f16 v87, v52, v56, v14
	v_dot2_f32_f16 v89, v52, v58, v23
	;; [unrolled: 1-line block ×31, first 2 shown]
	buffer_load_dword v15, off, s[80:83], 0 offset:20 ; 4-byte Folded Reload
	s_waitcnt vmcnt(1)
	v_add_u32_e32 v2, s63, v0
	buffer_load_dword v0, off, s[80:83], 0 offset:48 ; 4-byte Folded Reload
	s_waitcnt vmcnt(0)
	v_add_u32_e32 v0, v2, v0
	v_lshrrev_b32_e32 v0, s50, v0
	v_mad_u64_u32 v[4:5], s[2:3], s65, v0, v[2:3]
	v_mul_hi_u32 v3, v0, s39
	v_cmp_gt_i32_e64 s[2:3], s51, v2
	v_sub_u32_e32 v5, v4, v30
	v_mul_lo_u32 v5, v5, s78
	v_add_u32_e32 v3, v0, v3
	v_lshrrev_b32_e32 v11, s49, v3
	v_mul_lo_u32 v3, v11, s13
	buffer_load_dword v2, off, s[80:83], 0 offset:44 ; 4-byte Folded Reload
	v_sub_u32_e32 v12, v0, v3
	v_mul_hi_u32 v3, v11, s16
	v_sub_u32_e32 v0, v12, v34
	v_mul_lo_u32 v0, v0, s72
	v_add_u32_e32 v3, v11, v3
	v_lshrrev_b32_e32 v3, s48, v3
	v_mul_lo_u32 v13, v3, s12
	v_sub_u32_e32 v1, v3, v1
	v_mul_lo_u32 v1, v1, s68
	v_add_u32_e32 v18, v0, v36
	v_sub_u32_e32 v11, v11, v13
	v_sub_u32_e32 v13, v11, v35
	v_mul_lo_u32 v13, v13, s70
	v_add_u32_e32 v27, v1, v38
	v_mul_lo_u32 v1, v1, s29
	v_mul_lo_u32 v0, v0, s31
	v_add_u32_e32 v26, v13, v37
	v_mul_lo_u32 v13, v13, s30
	v_cmp_gt_i32_e64 s[8:9], s37, v18
	v_add3_u32 v0, v0, v5, v1
	v_cmp_le_i32_e64 s[6:7], s53, v18
	v_add3_u32 v0, v0, v13, v9
	v_lshlrev_b32_e32 v1, 1, v0
	buffer_load_dwordx4 v[19:22], v1, s[44:47], 0 offen
	s_and_b64 s[2:3], s[8:9], s[2:3]
	s_and_b64 s[8:9], s[2:3], s[6:7]
	v_cmp_le_i32_e64 s[2:3], s77, v26
	v_cmp_gt_i32_e64 s[6:7], s17, v26
	s_and_b64 s[2:3], s[2:3], s[6:7]
	s_and_b64 s[8:9], s[8:9], s[2:3]
	v_cmp_le_i32_e64 s[2:3], s76, v27
	v_cmp_gt_i32_e64 s[6:7], s10, v27
	s_and_b64 s[2:3], s[2:3], s[6:7]
	s_and_b64 s[2:3], s[2:3], s[8:9]
	s_and_b64 s[2:3], vcc, s[2:3]
	buffer_load_dword v9, off, s[80:83], 0 offset:12 ; 4-byte Folded Reload
	s_waitcnt vmcnt(1)
	v_cndmask_b32_e64 v1, 0, v22, s[2:3]
	buffer_store_dword v1, off, s[80:83], 0 offset:48 ; 4-byte Folded Spill
	v_cndmask_b32_e64 v1, 0, v21, s[2:3]
	buffer_store_dword v1, off, s[80:83], 0 offset:52 ; 4-byte Folded Spill
	;; [unrolled: 2-line block ×4, first 2 shown]
	buffer_load_dword v1, off, s[80:83], 0 offset:132 ; 4-byte Folded Reload
	s_add_i32 s2, s52, s54
	s_add_i32 s2, s2, s2
	s_waitcnt vmcnt(5)
	v_add_u32_e32 v9, s2, v9
	buffer_store_dword v9, off, s[80:83], 0 offset:12 ; 4-byte Folded Spill
	s_waitcnt vmcnt(1)
	v_add_u32_e32 v1, s63, v1
	v_add_u32_e32 v2, v1, v2
	v_lshrrev_b32_e32 v2, s50, v2
	v_mul_lo_u32 v5, v2, s14
	v_mul_lo_u32 v38, s65, v2
	v_cmp_gt_i32_e64 s[2:3], s51, v1
	s_add_i32 s63, s63, s64
	v_sub_u32_e32 v5, v9, v5
	buffer_store_dword v5, off, s[80:83], 0 offset:44 ; 4-byte Folded Spill
	v_add_u32_e32 v5, v1, v38
	v_sub_u32_e32 v4, v5, v4
	v_mul_hi_u32 v5, v2, s39
	v_mul_lo_u32 v4, v4, s78
	v_add_u32_e32 v5, v2, v5
	v_lshrrev_b32_e32 v5, s49, v5
	v_mul_lo_u32 v9, v5, s13
	v_sub_u32_e32 v36, v2, v9
	v_mul_hi_u32 v9, v5, s16
	v_sub_u32_e32 v2, v36, v12
	v_mul_lo_u32 v2, v2, s72
	v_add_u32_e32 v9, v5, v9
	v_lshrrev_b32_e32 v34, s48, v9
	v_mul_lo_u32 v9, v34, s12
	v_sub_u32_e32 v3, v34, v3
	v_mul_lo_u32 v3, v3, s68
	v_add_u32_e32 v31, v2, v18
	v_sub_u32_e32 v35, v5, v9
	v_sub_u32_e32 v5, v35, v11
	v_mul_lo_u32 v5, v5, s70
	v_add_u32_e32 v32, v3, v27
	v_mul_lo_u32 v3, v3, s29
	v_mul_lo_u32 v2, v2, s31
	v_add_u32_e32 v30, v5, v26
	v_mul_lo_u32 v5, v5, s30
	v_cmp_gt_i32_e64 s[8:9], s37, v31
	v_add3_u32 v2, v2, v4, v3
	v_cmp_le_i32_e64 s[6:7], s53, v31
	v_add3_u32 v37, v2, v5, v0
	v_lshlrev_b32_e32 v0, 1, v37
	buffer_load_dwordx4 v[0:3], v0, s[44:47], 0 offen
	s_and_b64 s[2:3], s[8:9], s[2:3]
	s_and_b64 s[8:9], s[2:3], s[6:7]
	v_cmp_le_i32_e64 s[2:3], s77, v30
	v_cmp_gt_i32_e64 s[6:7], s17, v30
	s_and_b64 s[2:3], s[2:3], s[6:7]
	s_and_b64 s[8:9], s[8:9], s[2:3]
	v_cmp_le_i32_e64 s[2:3], s76, v32
	v_cmp_gt_i32_e64 s[6:7], s10, v32
	s_and_b64 s[2:3], s[2:3], s[6:7]
	s_and_b64 s[2:3], s[2:3], s[8:9]
	s_and_b64 s[2:3], vcc, s[2:3]
	s_waitcnt vmcnt(0)
	v_cndmask_b32_e64 v3, 0, v3, s[2:3]
	v_cndmask_b32_e64 v2, 0, v2, s[2:3]
	;; [unrolled: 1-line block ×4, first 2 shown]
	buffer_store_dword v3, off, s[80:83], 0 offset:80 ; 4-byte Folded Spill
	buffer_store_dword v2, off, s[80:83], 0 offset:84 ; 4-byte Folded Spill
	;; [unrolled: 1-line block ×4, first 2 shown]
	buffer_load_dword v0, off, s[80:83], 0  ; 4-byte Folded Reload
	s_nop 0
	buffer_load_dword v1, off, s[80:83], 0 offset:116 ; 4-byte Folded Reload
	v_cmp_gt_i32_e64 s[2:3], s61, v15
	s_and_b64 s[2:3], s[0:1], s[2:3]
	v_add_u32_e32 v15, s56, v15
	s_waitcnt vmcnt(0)
	v_add_u32_e32 v0, v1, v0
	buffer_load_dwordx4 v[0:3], v0, s[20:23], 0 offen
	s_waitcnt vmcnt(0)
	v_cndmask_b32_e64 v0, 0, v0, s[2:3]
	buffer_store_dword v0, off, s[80:83], 0 offset:76 ; 4-byte Folded Spill
	buffer_load_dword v0, off, s[80:83], 0 offset:8 ; 4-byte Folded Reload
	v_cndmask_b32_e64 v3, 0, v3, s[2:3]
	v_cndmask_b32_e64 v2, 0, v2, s[2:3]
	v_cndmask_b32_e64 v1, 0, v1, s[2:3]
	s_add_i32 s2, s62, s38
	s_add_i32 s2, s2, s2
	buffer_store_dword v3, off, s[80:83], 0 offset:64 ; 4-byte Folded Spill
	buffer_store_dword v2, off, s[80:83], 0 offset:68 ; 4-byte Folded Spill
	;; [unrolled: 1-line block ×3, first 2 shown]
	s_waitcnt vmcnt(3)
	v_add_u32_e32 v0, s2, v0
	buffer_store_dword v0, off, s[80:83], 0 offset:8 ; 4-byte Folded Spill
	buffer_load_dword v0, off, s[80:83], 0 offset:112 ; 4-byte Folded Reload
	s_nop 0
	buffer_load_dword v1, off, s[80:83], 0  ; 4-byte Folded Reload
	buffer_load_dword v54, off, s[80:83], 0 offset:16 ; 4-byte Folded Reload
	s_waitcnt vmcnt(1)
	v_add_u32_e32 v0, v0, v1
	buffer_load_dwordx4 v[0:3], v0, s[20:23], 0 offen
	s_waitcnt vmcnt(1)
	v_cmp_gt_i32_e64 s[2:3], s61, v54
	s_and_b64 s[2:3], s[0:1], s[2:3]
	v_add_u32_e32 v54, s56, v54
	s_cmp_lt_i32 s66, s28
	s_waitcnt vmcnt(0)
	v_cndmask_b32_e64 v3, 0, v3, s[2:3]
	v_cndmask_b32_e64 v2, 0, v2, s[2:3]
	;; [unrolled: 1-line block ×4, first 2 shown]
	buffer_store_dword v3, off, s[80:83], 0 offset:96 ; 4-byte Folded Spill
	buffer_store_dword v2, off, s[80:83], 0 offset:100 ; 4-byte Folded Spill
	;; [unrolled: 1-line block ×4, first 2 shown]
	s_waitcnt vmcnt(0) lgkmcnt(0)
	s_barrier
	ds_read_b128 v[0:3], v6 offset:8192
	ds_read_b128 v[19:22], v7 offset:24576
	;; [unrolled: 1-line block ×4, first 2 shown]
	s_waitcnt lgkmcnt(2)
	v_dot2_f32_f16 v4, v0, v19, v87
	v_dot2_f32_f16 v5, v0, v20, v88
	;; [unrolled: 1-line block ×16, first 2 shown]
	s_waitcnt lgkmcnt(1)
	v_dot2_f32_f16 v72, v0, v119, v103
	v_dot2_f32_f16 v73, v0, v120, v104
	;; [unrolled: 1-line block ×16, first 2 shown]
	ds_read_b128 v[0:3], v6 offset:8704
	s_waitcnt lgkmcnt(1)
	v_dot2_f32_f16 v14, v123, v19, v14
	v_dot2_f32_f16 v17, v123, v20, v17
	;; [unrolled: 1-line block ×16, first 2 shown]
	ds_read_b128 v[19:22], v7 offset:25088
	v_dot2_f32_f16 v98, v123, v119, v55
	v_dot2_f32_f16 v99, v123, v120, v56
	;; [unrolled: 1-line block ×7, first 2 shown]
	ds_read_b128 v[55:58], v7 offset:25344
	ds_read_b128 v[59:62], v6 offset:8960
	v_dot2_f32_f16 v10, v124, v120, v10
	v_dot2_f32_f16 v63, v125, v119, v63
	;; [unrolled: 1-line block ×9, first 2 shown]
	s_waitcnt lgkmcnt(2)
	v_dot2_f32_f16 v4, v0, v19, v4
	v_dot2_f32_f16 v5, v0, v20, v5
	v_dot2_f32_f16 v9, v0, v21, v9
	v_dot2_f32_f16 v11, v0, v22, v11
	v_dot2_f32_f16 v12, v1, v19, v12
	v_dot2_f32_f16 v13, v1, v20, v13
	v_dot2_f32_f16 v18, v1, v21, v18
	v_dot2_f32_f16 v26, v1, v22, v26
	v_dot2_f32_f16 v27, v2, v19, v27
	v_dot2_f32_f16 v28, v2, v20, v28
	v_dot2_f32_f16 v29, v2, v21, v29
	v_dot2_f32_f16 v39, v2, v22, v39
	v_dot2_f32_f16 v40, v3, v19, v40
	v_dot2_f32_f16 v41, v3, v20, v41
	v_dot2_f32_f16 v42, v3, v21, v42
	v_dot2_f32_f16 v71, v3, v22, v71
	s_waitcnt lgkmcnt(1)
	v_dot2_f32_f16 v72, v0, v55, v72
	v_dot2_f32_f16 v73, v0, v56, v73
	;; [unrolled: 1-line block ×16, first 2 shown]
	ds_read_b128 v[0:3], v6 offset:9216
	s_waitcnt lgkmcnt(1)
	v_dot2_f32_f16 v14, v59, v19, v14
	v_dot2_f32_f16 v17, v59, v20, v17
	;; [unrolled: 1-line block ×16, first 2 shown]
	ds_read_b128 v[19:22], v7 offset:25600
	v_dot2_f32_f16 v98, v59, v55, v98
	v_dot2_f32_f16 v99, v59, v56, v99
	;; [unrolled: 1-line block ×16, first 2 shown]
	ds_read_b128 v[55:58], v7 offset:25856
	ds_read_b128 v[59:62], v6 offset:9472
	s_waitcnt lgkmcnt(2)
	v_dot2_f32_f16 v4, v0, v19, v4
	v_dot2_f32_f16 v5, v0, v20, v5
	v_dot2_f32_f16 v9, v0, v21, v9
	v_dot2_f32_f16 v11, v0, v22, v11
	v_dot2_f32_f16 v12, v1, v19, v12
	v_dot2_f32_f16 v13, v1, v20, v13
	v_dot2_f32_f16 v18, v1, v21, v18
	v_dot2_f32_f16 v26, v1, v22, v26
	v_dot2_f32_f16 v27, v2, v19, v27
	v_dot2_f32_f16 v28, v2, v20, v28
	v_dot2_f32_f16 v29, v2, v21, v29
	v_dot2_f32_f16 v39, v2, v22, v39
	v_dot2_f32_f16 v40, v3, v19, v40
	v_dot2_f32_f16 v41, v3, v20, v41
	v_dot2_f32_f16 v42, v3, v21, v42
	v_dot2_f32_f16 v71, v3, v22, v71
	s_waitcnt lgkmcnt(1)
	v_dot2_f32_f16 v72, v0, v55, v72
	v_dot2_f32_f16 v73, v0, v56, v73
	;; [unrolled: 1-line block ×16, first 2 shown]
	ds_read_b128 v[0:3], v6 offset:9728
	s_waitcnt lgkmcnt(1)
	v_dot2_f32_f16 v14, v59, v19, v14
	v_dot2_f32_f16 v17, v59, v20, v17
	;; [unrolled: 1-line block ×16, first 2 shown]
	ds_read_b128 v[19:22], v7 offset:26112
	v_dot2_f32_f16 v98, v59, v55, v98
	v_dot2_f32_f16 v99, v59, v56, v99
	;; [unrolled: 1-line block ×16, first 2 shown]
	ds_read_b128 v[55:58], v7 offset:26368
	ds_read_b128 v[59:62], v6 offset:9984
	s_waitcnt lgkmcnt(2)
	v_dot2_f32_f16 v4, v0, v19, v4
	v_dot2_f32_f16 v5, v0, v20, v5
	;; [unrolled: 1-line block ×16, first 2 shown]
	s_waitcnt lgkmcnt(1)
	v_dot2_f32_f16 v72, v0, v55, v72
	v_dot2_f32_f16 v73, v0, v56, v73
	;; [unrolled: 1-line block ×16, first 2 shown]
	ds_read_b128 v[0:3], v6 offset:10240
	s_waitcnt lgkmcnt(1)
	v_dot2_f32_f16 v14, v59, v19, v14
	v_dot2_f32_f16 v17, v59, v20, v17
	;; [unrolled: 1-line block ×16, first 2 shown]
	ds_read_b128 v[19:22], v7 offset:26624
	v_dot2_f32_f16 v98, v59, v55, v98
	v_dot2_f32_f16 v99, v59, v56, v99
	;; [unrolled: 1-line block ×16, first 2 shown]
	ds_read_b128 v[55:58], v7 offset:26880
	ds_read_b128 v[59:62], v6 offset:10496
	s_waitcnt lgkmcnt(2)
	v_dot2_f32_f16 v4, v0, v19, v4
	v_dot2_f32_f16 v5, v0, v20, v5
	v_dot2_f32_f16 v9, v0, v21, v9
	v_dot2_f32_f16 v11, v0, v22, v11
	v_dot2_f32_f16 v12, v1, v19, v12
	v_dot2_f32_f16 v13, v1, v20, v13
	v_dot2_f32_f16 v18, v1, v21, v18
	v_dot2_f32_f16 v26, v1, v22, v26
	v_dot2_f32_f16 v27, v2, v19, v27
	v_dot2_f32_f16 v28, v2, v20, v28
	v_dot2_f32_f16 v29, v2, v21, v29
	v_dot2_f32_f16 v39, v2, v22, v39
	v_dot2_f32_f16 v40, v3, v19, v40
	v_dot2_f32_f16 v41, v3, v20, v41
	v_dot2_f32_f16 v42, v3, v21, v42
	v_dot2_f32_f16 v71, v3, v22, v71
	s_waitcnt lgkmcnt(1)
	v_dot2_f32_f16 v72, v0, v55, v72
	v_dot2_f32_f16 v73, v0, v56, v73
	;; [unrolled: 1-line block ×16, first 2 shown]
	ds_read_b128 v[0:3], v6 offset:10752
	s_waitcnt lgkmcnt(1)
	v_dot2_f32_f16 v14, v59, v19, v14
	v_dot2_f32_f16 v17, v59, v20, v17
	;; [unrolled: 1-line block ×16, first 2 shown]
	ds_read_b128 v[19:22], v7 offset:27136
	v_dot2_f32_f16 v98, v59, v55, v98
	v_dot2_f32_f16 v99, v59, v56, v99
	;; [unrolled: 1-line block ×16, first 2 shown]
	ds_read_b128 v[55:58], v7 offset:27392
	ds_read_b128 v[59:62], v6 offset:11008
	s_waitcnt lgkmcnt(2)
	v_dot2_f32_f16 v4, v0, v19, v4
	v_dot2_f32_f16 v5, v0, v20, v5
	;; [unrolled: 1-line block ×16, first 2 shown]
	s_waitcnt lgkmcnt(1)
	v_dot2_f32_f16 v72, v0, v55, v72
	v_dot2_f32_f16 v73, v0, v56, v73
	;; [unrolled: 1-line block ×16, first 2 shown]
	ds_read_b128 v[0:3], v6 offset:11264
	s_waitcnt lgkmcnt(1)
	v_dot2_f32_f16 v14, v59, v19, v14
	v_dot2_f32_f16 v17, v59, v20, v17
	;; [unrolled: 1-line block ×16, first 2 shown]
	ds_read_b128 v[19:22], v7 offset:27648
	v_dot2_f32_f16 v98, v59, v55, v98
	v_dot2_f32_f16 v99, v59, v56, v99
	;; [unrolled: 1-line block ×16, first 2 shown]
	ds_read_b128 v[55:58], v7 offset:27904
	ds_read_b128 v[59:62], v6 offset:11520
	s_waitcnt lgkmcnt(2)
	v_dot2_f32_f16 v4, v0, v19, v4
	v_dot2_f32_f16 v5, v0, v20, v5
	;; [unrolled: 1-line block ×16, first 2 shown]
	s_waitcnt lgkmcnt(1)
	v_dot2_f32_f16 v72, v0, v55, v72
	v_dot2_f32_f16 v73, v0, v56, v73
	;; [unrolled: 1-line block ×16, first 2 shown]
	ds_read_b128 v[0:3], v6 offset:11776
	s_waitcnt lgkmcnt(1)
	v_dot2_f32_f16 v14, v59, v19, v14
	v_dot2_f32_f16 v17, v59, v20, v17
	;; [unrolled: 1-line block ×16, first 2 shown]
	ds_read_b128 v[19:22], v7 offset:28160
	v_dot2_f32_f16 v98, v59, v55, v98
	v_dot2_f32_f16 v99, v59, v56, v99
	;; [unrolled: 1-line block ×16, first 2 shown]
	ds_read_b128 v[55:58], v7 offset:28416
	ds_read_b128 v[59:62], v6 offset:12032
	s_waitcnt lgkmcnt(2)
	v_dot2_f32_f16 v4, v0, v19, v4
	v_dot2_f32_f16 v5, v0, v20, v5
	;; [unrolled: 1-line block ×16, first 2 shown]
	s_waitcnt lgkmcnt(1)
	v_dot2_f32_f16 v72, v0, v55, v72
	v_dot2_f32_f16 v73, v0, v56, v73
	;; [unrolled: 1-line block ×16, first 2 shown]
	ds_read_b128 v[0:3], v6 offset:12288
	s_waitcnt lgkmcnt(1)
	v_dot2_f32_f16 v14, v59, v19, v14
	v_dot2_f32_f16 v17, v59, v20, v17
	;; [unrolled: 1-line block ×16, first 2 shown]
	ds_read_b128 v[19:22], v7 offset:28672
	v_dot2_f32_f16 v98, v59, v55, v98
	v_dot2_f32_f16 v99, v59, v56, v99
	;; [unrolled: 1-line block ×16, first 2 shown]
	ds_read_b128 v[55:58], v7 offset:28928
	ds_read_b128 v[59:62], v6 offset:12544
	s_waitcnt lgkmcnt(2)
	v_dot2_f32_f16 v4, v0, v19, v4
	v_dot2_f32_f16 v5, v0, v20, v5
	;; [unrolled: 1-line block ×16, first 2 shown]
	s_waitcnt lgkmcnt(1)
	v_dot2_f32_f16 v72, v0, v55, v72
	v_dot2_f32_f16 v73, v0, v56, v73
	;; [unrolled: 1-line block ×16, first 2 shown]
	ds_read_b128 v[0:3], v6 offset:12800
	s_waitcnt lgkmcnt(1)
	v_dot2_f32_f16 v14, v59, v19, v14
	v_dot2_f32_f16 v17, v59, v20, v17
	;; [unrolled: 1-line block ×16, first 2 shown]
	ds_read_b128 v[19:22], v7 offset:29184
	v_dot2_f32_f16 v98, v59, v55, v98
	v_dot2_f32_f16 v99, v59, v56, v99
	v_dot2_f32_f16 v100, v59, v57, v100
	v_dot2_f32_f16 v101, v59, v58, v101
	v_dot2_f32_f16 v102, v60, v55, v102
	v_dot2_f32_f16 v10, v60, v56, v10
	v_dot2_f32_f16 v103, v60, v57, v103
	v_dot2_f32_f16 v104, v60, v58, v104
	v_dot2_f32_f16 v63, v61, v55, v63
	v_dot2_f32_f16 v64, v61, v56, v64
	v_dot2_f32_f16 v65, v61, v57, v65
	v_dot2_f32_f16 v66, v61, v58, v66
	v_dot2_f32_f16 v67, v62, v55, v67
	v_dot2_f32_f16 v68, v62, v56, v68
	v_dot2_f32_f16 v69, v62, v57, v69
	v_dot2_f32_f16 v70, v62, v58, v70
	ds_read_b128 v[55:58], v7 offset:29440
	ds_read_b128 v[59:62], v6 offset:13056
	s_waitcnt lgkmcnt(2)
	v_dot2_f32_f16 v4, v0, v19, v4
	v_dot2_f32_f16 v5, v0, v20, v5
	;; [unrolled: 1-line block ×16, first 2 shown]
	s_waitcnt lgkmcnt(1)
	v_dot2_f32_f16 v72, v0, v55, v72
	v_dot2_f32_f16 v73, v0, v56, v73
	;; [unrolled: 1-line block ×16, first 2 shown]
	ds_read_b128 v[0:3], v6 offset:13312
	s_waitcnt lgkmcnt(1)
	v_dot2_f32_f16 v14, v59, v19, v14
	v_dot2_f32_f16 v17, v59, v20, v17
	;; [unrolled: 1-line block ×16, first 2 shown]
	ds_read_b128 v[19:22], v7 offset:29696
	v_dot2_f32_f16 v98, v59, v55, v98
	v_dot2_f32_f16 v99, v59, v56, v99
	;; [unrolled: 1-line block ×16, first 2 shown]
	ds_read_b128 v[55:58], v7 offset:29952
	ds_read_b128 v[59:62], v6 offset:13568
	s_waitcnt lgkmcnt(2)
	v_dot2_f32_f16 v4, v0, v19, v4
	v_dot2_f32_f16 v5, v0, v20, v5
	;; [unrolled: 1-line block ×16, first 2 shown]
	s_waitcnt lgkmcnt(1)
	v_dot2_f32_f16 v72, v0, v55, v72
	v_dot2_f32_f16 v73, v0, v56, v73
	;; [unrolled: 1-line block ×16, first 2 shown]
	ds_read_b128 v[0:3], v6 offset:13824
	s_waitcnt lgkmcnt(1)
	v_dot2_f32_f16 v14, v59, v19, v14
	v_dot2_f32_f16 v17, v59, v20, v17
	;; [unrolled: 1-line block ×16, first 2 shown]
	ds_read_b128 v[19:22], v7 offset:30208
	v_dot2_f32_f16 v98, v59, v55, v98
	v_dot2_f32_f16 v99, v59, v56, v99
	;; [unrolled: 1-line block ×16, first 2 shown]
	ds_read_b128 v[55:58], v7 offset:30464
	ds_read_b128 v[59:62], v6 offset:14080
	s_waitcnt lgkmcnt(2)
	v_dot2_f32_f16 v4, v0, v19, v4
	v_dot2_f32_f16 v5, v0, v20, v5
	;; [unrolled: 1-line block ×16, first 2 shown]
	s_waitcnt lgkmcnt(1)
	v_dot2_f32_f16 v72, v0, v55, v72
	v_dot2_f32_f16 v73, v0, v56, v73
	;; [unrolled: 1-line block ×16, first 2 shown]
	ds_read_b128 v[0:3], v6 offset:14336
	s_waitcnt lgkmcnt(1)
	v_dot2_f32_f16 v14, v59, v19, v14
	v_dot2_f32_f16 v17, v59, v20, v17
	;; [unrolled: 1-line block ×16, first 2 shown]
	ds_read_b128 v[19:22], v7 offset:30720
	v_dot2_f32_f16 v98, v59, v55, v98
	v_dot2_f32_f16 v99, v59, v56, v99
	v_dot2_f32_f16 v100, v59, v57, v100
	v_dot2_f32_f16 v101, v59, v58, v101
	v_dot2_f32_f16 v102, v60, v55, v102
	v_dot2_f32_f16 v10, v60, v56, v10
	v_dot2_f32_f16 v103, v60, v57, v103
	v_dot2_f32_f16 v104, v60, v58, v104
	v_dot2_f32_f16 v63, v61, v55, v63
	v_dot2_f32_f16 v64, v61, v56, v64
	v_dot2_f32_f16 v65, v61, v57, v65
	v_dot2_f32_f16 v66, v61, v58, v66
	v_dot2_f32_f16 v67, v62, v55, v67
	v_dot2_f32_f16 v68, v62, v56, v68
	v_dot2_f32_f16 v69, v62, v57, v69
	v_dot2_f32_f16 v70, v62, v58, v70
	ds_read_b128 v[55:58], v7 offset:30976
	ds_read_b128 v[59:62], v6 offset:14592
	s_waitcnt lgkmcnt(2)
	v_dot2_f32_f16 v4, v0, v19, v4
	v_dot2_f32_f16 v5, v0, v20, v5
	;; [unrolled: 1-line block ×16, first 2 shown]
	s_waitcnt lgkmcnt(1)
	v_dot2_f32_f16 v72, v0, v55, v72
	v_dot2_f32_f16 v73, v0, v56, v73
	;; [unrolled: 1-line block ×16, first 2 shown]
	ds_read_b128 v[0:3], v6 offset:14848
	s_waitcnt lgkmcnt(1)
	v_dot2_f32_f16 v14, v59, v19, v14
	v_dot2_f32_f16 v17, v59, v20, v17
	;; [unrolled: 1-line block ×16, first 2 shown]
	ds_read_b128 v[19:22], v7 offset:31232
	v_dot2_f32_f16 v98, v59, v55, v98
	v_dot2_f32_f16 v99, v59, v56, v99
	;; [unrolled: 1-line block ×16, first 2 shown]
	ds_read_b128 v[55:58], v7 offset:31488
	ds_read_b128 v[59:62], v6 offset:15104
	s_waitcnt lgkmcnt(2)
	v_dot2_f32_f16 v4, v0, v19, v4
	v_dot2_f32_f16 v5, v0, v20, v5
	;; [unrolled: 1-line block ×16, first 2 shown]
	s_waitcnt lgkmcnt(1)
	v_dot2_f32_f16 v72, v0, v55, v72
	v_dot2_f32_f16 v73, v0, v56, v73
	;; [unrolled: 1-line block ×16, first 2 shown]
	ds_read_b128 v[0:3], v6 offset:15360
	s_waitcnt lgkmcnt(1)
	v_dot2_f32_f16 v14, v59, v19, v14
	v_dot2_f32_f16 v17, v59, v20, v17
	;; [unrolled: 1-line block ×16, first 2 shown]
	ds_read_b128 v[19:22], v7 offset:31744
	v_dot2_f32_f16 v43, v59, v55, v98
	v_dot2_f32_f16 v44, v59, v56, v99
	ds_read_b128 v[92:95], v7 offset:32000
	ds_read_b128 v[96:99], v6 offset:15616
	v_dot2_f32_f16 v100, v59, v57, v100
	v_dot2_f32_f16 v101, v59, v58, v101
	;; [unrolled: 1-line block ×14, first 2 shown]
	s_waitcnt lgkmcnt(2)
	v_dot2_f32_f16 v55, v0, v19, v4
	v_dot2_f32_f16 v56, v0, v20, v5
	;; [unrolled: 1-line block ×16, first 2 shown]
	s_waitcnt lgkmcnt(1)
	v_dot2_f32_f16 v71, v0, v92, v72
	v_dot2_f32_f16 v72, v0, v93, v73
	v_dot2_f32_f16 v73, v0, v94, v74
	v_dot2_f32_f16 v74, v0, v95, v80
	v_dot2_f32_f16 v75, v1, v92, v81
	v_dot2_f32_f16 v76, v1, v93, v87
	v_dot2_f32_f16 v77, v1, v94, v88
	v_dot2_f32_f16 v78, v1, v95, v89
	v_dot2_f32_f16 v79, v2, v92, v90
	v_dot2_f32_f16 v80, v2, v93, v91
	v_dot2_f32_f16 v81, v2, v94, v105
	v_dot2_f32_f16 v82, v2, v95, v106
	v_dot2_f32_f16 v83, v3, v92, v107
	v_dot2_f32_f16 v84, v3, v93, v108
	v_dot2_f32_f16 v85, v3, v94, v109
	v_dot2_f32_f16 v89, v3, v95, v110
	ds_read_b128 v[0:3], v6 offset:15872
	s_waitcnt lgkmcnt(1)
	v_dot2_f32_f16 v90, v96, v19, v14
	v_dot2_f32_f16 v91, v96, v20, v17
	;; [unrolled: 1-line block ×16, first 2 shown]
	ds_read_b128 v[19:22], v7 offset:32256
	ds_read_b128 v[11:14], v7 offset:32512
	;; [unrolled: 1-line block ×3, first 2 shown]
	v_dot2_f32_f16 v16, v96, v92, v43
	v_dot2_f32_f16 v40, v97, v95, v104
	;; [unrolled: 1-line block ×16, first 2 shown]
	s_waitcnt lgkmcnt(2)
	v_dot2_f32_f16 v118, v0, v19, v55
	v_dot2_f32_f16 v117, v0, v20, v56
	;; [unrolled: 1-line block ×16, first 2 shown]
	s_waitcnt lgkmcnt(1)
	v_dot2_f32_f16 v110, v0, v11, v71
	v_dot2_f32_f16 v109, v0, v12, v72
	;; [unrolled: 1-line block ×8, first 2 shown]
	buffer_load_dword v1, off, s[80:83], 0 offset:40 ; 4-byte Folded Reload
	buffer_load_dword v0, off, s[80:83], 0 offset:4 ; 4-byte Folded Reload
	v_dot2_f32_f16 v94, v2, v11, v79
	v_dot2_f32_f16 v93, v2, v12, v80
	v_dot2_f32_f16 v92, v2, v13, v81
	v_dot2_f32_f16 v88, v2, v14, v82
	v_dot2_f32_f16 v87, v3, v11, v83
	v_dot2_f32_f16 v86, v3, v12, v84
	v_dot2_f32_f16 v85, v3, v13, v85
	v_dot2_f32_f16 v84, v3, v14, v89
	s_waitcnt lgkmcnt(0)
	v_dot2_f32_f16 v65, v25, v22, v4
	buffer_load_dword v4, off, s[80:83], 0 offset:32 ; 4-byte Folded Reload
	v_dot2_f32_f16 v59, v26, v19, v5
	buffer_load_dword v5, off, s[80:83], 0 offset:36 ; 4-byte Folded Reload
	v_dot2_f32_f16 v89, v26, v20, v10
	v_dot2_f32_f16 v70, v23, v11, v16
	buffer_load_dword v16, off, s[80:83], 0 ; 4-byte Folded Reload
	v_dot2_f32_f16 v60, v24, v14, v40
	buffer_load_dword v40, off, s[80:83], 0 offset:44 ; 4-byte Folded Reload
	buffer_load_dword v10, off, s[80:83], 0 offset:24 ; 4-byte Folded Reload
	;; [unrolled: 1-line block ×4, first 2 shown]
	v_dot2_f32_f16 v79, v23, v19, v90
	v_dot2_f32_f16 v78, v23, v20, v91
	;; [unrolled: 1-line block ×27, first 2 shown]
	s_waitcnt vmcnt(8)
	v_add_u32_e32 v1, s64, v1
	s_waitcnt vmcnt(7)
	v_add_u32_e32 v0, s64, v0
	;; [unrolled: 2-line block ×6, first 2 shown]
	s_waitcnt vmcnt(0)
	ds_write2st64_b32 v8, v3, v2 offset1:2
	buffer_load_dword v2, off, s[80:83], 0 offset:48 ; 4-byte Folded Reload
	buffer_load_dword v3, off, s[80:83], 0 offset:52 ; 4-byte Folded Reload
	s_waitcnt vmcnt(0)
	ds_write2st64_b32 v8, v3, v2 offset0:4 offset1:6
	buffer_load_dword v2, off, s[80:83], 0 offset:88 ; 4-byte Folded Reload
	buffer_load_dword v3, off, s[80:83], 0 offset:92 ; 4-byte Folded Reload
	s_waitcnt vmcnt(0)
	ds_write2st64_b32 v8, v3, v2 offset0:8 offset1:10
	;; [unrolled: 4-line block ×7, first 2 shown]
	buffer_store_dword v15, off, s[80:83], 0 offset:20 ; 4-byte Folded Spill
	buffer_load_dword v15, off, s[80:83], 0 offset:28 ; 4-byte Folded Reload
	s_waitcnt vmcnt(0)
	v_add_u32_e32 v15, s56, v15
	buffer_store_dword v54, off, s[80:83], 0 offset:16 ; 4-byte Folded Spill
	s_cbranch_scc1 .LBB9_1
; %bb.2:
	buffer_load_dword v0, off, s[80:83], 0 offset:152 ; 4-byte Folded Reload
	s_load_dwordx2 s[2:3], s[4:5], 0x10
	s_mul_i32 s4, s26, s57
	s_mul_hi_u32 s5, s26, s55
	s_add_i32 s4, s5, s4
	s_mul_i32 s5, s27, s55
	s_add_i32 s5, s4, s5
	s_mul_i32 s4, s26, s55
	s_lshl_b64 s[4:5], s[4:5], 1
	s_add_u32 s28, s74, s4
	s_addc_u32 s56, s75, s5
	s_mul_i32 s4, s24, s57
	s_mul_hi_u32 s5, s24, s55
	s_add_i32 s4, s5, s4
	s_mul_i32 s5, s25, s55
	s_add_i32 s5, s4, s5
	s_mul_i32 s4, s24, s55
	s_lshl_b64 s[4:5], s[4:5], 1
	s_waitcnt lgkmcnt(0)
	s_add_u32 s24, s2, s4
	s_addc_u32 s25, s3, s5
	s_add_i32 s54, s54, s63
	s_waitcnt vmcnt(0) lgkmcnt(0)
	s_barrier
	s_lshl_b32 s26, s36, 1
	s_and_b32 s25, s25, 0xffff
	s_mov_b32 s27, 0x20000
	v_add_u32_e32 v0, 4, v0
	v_mul_lo_u32 v0, s59, v0
	v_add_u32_e32 v5, s54, v0
	v_mul_hi_u32 v1, v5, s18
	v_add3_u32 v4, v0, v38, s63
	v_add_u32_e32 v28, s52, v5
	v_mul_hi_u32 v11, v28, s18
	v_add_u32_e32 v1, v5, v1
	v_lshrrev_b32_e32 v1, s50, v1
	v_mul_hi_u32 v2, v1, s39
	v_mul_lo_u32 v0, v1, s14
	v_cmp_gt_i32_e64 s[4:5], s51, v28
	v_add_u32_e32 v2, v1, v2
	v_lshrrev_b32_e32 v2, s49, v2
	v_mul_hi_u32 v3, v2, s16
	v_mul_lo_u32 v9, v2, s13
	v_sub_u32_e32 v0, v5, v0
	v_add_u32_e32 v3, v2, v3
	v_lshrrev_b32_e32 v13, s48, v3
	v_mul_lo_u32 v3, v13, s12
	v_sub_u32_e32 v1, v1, v9
	v_sub_u32_e32 v9, v1, v36
	;; [unrolled: 1-line block ×5, first 2 shown]
	v_mul_lo_u32 v25, v10, s68
	v_mul_lo_u32 v27, v9, s72
	;; [unrolled: 1-line block ×3, first 2 shown]
	v_sub_u32_e32 v3, v0, v4
	v_mul_lo_u32 v4, v25, s29
	v_mul_lo_u32 v10, v27, s31
	;; [unrolled: 1-line block ×4, first 2 shown]
	v_add3_u32 v3, v10, v3, v4
	v_add3_u32 v14, v3, v9, v37
	v_add_u32_e32 v3, v28, v11
	v_lshrrev_b32_e32 v15, s50, v3
	v_mul_hi_u32 v3, v15, s39
	v_lshlrev_b32_e32 v9, 1, v14
	v_add_u32_e32 v3, v15, v3
	v_lshrrev_b32_e32 v16, s49, v3
	v_mul_hi_u32 v10, v16, s16
	v_mad_u64_u32 v[3:4], s[2:3], v15, s14, v[0:1]
	v_mad_u64_u32 v[0:1], s[2:3], v16, s13, v[1:2]
	v_add_u32_e32 v1, v16, v10
	v_lshrrev_b32_e32 v4, s48, v1
	v_mad_u64_u32 v[1:2], s[2:3], v4, s12, v[2:3]
	v_sub_u32_e32 v2, v28, v3
	v_sub_u32_e32 v0, v15, v0
	;; [unrolled: 1-line block ×4, first 2 shown]
	v_mul_lo_u32 v3, v3, s68
	v_mul_lo_u32 v4, v1, s70
	;; [unrolled: 1-line block ×6, first 2 shown]
	buffer_load_dwordx4 v[9:12], v9, s[44:47], 0 offen
	v_mad_u64_u32 v[0:1], s[2:3], v29, s31, v[0:1]
	v_cmp_gt_i32_e64 s[2:3], s51, v5
	s_lshl_b32 s30, s60, 1
	v_add3_u32 v0, v0, v2, v13
	v_add_lshl_u32 v0, v0, v14, 1
	buffer_load_dwordx4 v[13:16], v0, s[44:47], 0 offen
	s_nop 0
	buffer_load_dword v0, off, s[80:83], 0 offset:8 ; 4-byte Folded Reload
	s_and_b32 s29, s56, 0xffff
	s_mov_b32 s31, s27
	s_waitcnt vmcnt(0)
	v_add_u32_e32 v33, s38, v0
	buffer_load_dword v0, off, s[80:83], 0 offset:156 ; 4-byte Folded Reload
	s_waitcnt vmcnt(0)
	v_add_u32_e32 v0, v33, v0
	v_lshlrev_b32_e32 v1, 1, v0
	buffer_load_dwordx4 v[17:20], v1, s[20:23], 0 offen
	v_add_lshl_u32 v0, v0, s62, 1
	buffer_load_dwordx4 v[21:24], v0, s[20:23], 0 offen
	v_add_u32_e32 v0, v27, v31
	v_add_u32_e32 v1, v25, v32
	v_cmp_gt_i32_e64 s[8:9], s37, v0
	v_cmp_le_i32_e64 s[6:7], s53, v0
	s_and_b64 s[12:13], s[8:9], s[2:3]
	v_cmp_le_i32_e64 s[2:3], s76, v1
	v_cmp_gt_i32_e64 s[8:9], s10, v1
	v_add_u32_e32 v0, v29, v0
	s_and_b64 s[12:13], s[12:13], s[6:7]
	s_and_b64 s[8:9], s[2:3], s[8:9]
	v_cmp_le_i32_e64 s[2:3], s53, v0
	v_cmp_gt_i32_e64 s[6:7], s37, v0
	v_add_u32_e32 v0, v26, v30
	s_and_b64 s[20:21], s[6:7], s[4:5]
	v_cmp_le_i32_e64 s[4:5], s77, v0
	v_cmp_gt_i32_e64 s[6:7], s17, v0
	s_and_b64 s[20:21], s[20:21], s[2:3]
	s_and_b64 s[2:3], s[4:5], s[6:7]
	;; [unrolled: 1-line block ×3, first 2 shown]
	v_add_u32_e32 v0, v4, v0
	s_and_b64 s[6:7], s[8:9], s[2:3]
	v_cmp_le_i32_e64 s[2:3], s77, v0
	v_cmp_gt_i32_e64 s[4:5], s17, v0
	s_and_b64 s[2:3], s[2:3], s[4:5]
	v_add_u32_e32 v5, v3, v1
	s_and_b64 s[8:9], s[20:21], s[2:3]
	s_and_b64 s[2:3], vcc, s[6:7]
	v_cndmask_b32_e64 v0, 0, v12, s[2:3]
	v_cndmask_b32_e64 v1, 0, v11, s[2:3]
	;; [unrolled: 1-line block ×4, first 2 shown]
	v_cmp_le_i32_e64 s[2:3], s76, v5
	v_cmp_gt_i32_e64 s[4:5], s10, v5
	s_and_b64 s[2:3], s[2:3], s[4:5]
	s_and_b64 s[2:3], s[2:3], s[8:9]
	s_and_b64 vcc, vcc, s[2:3]
	v_cndmask_b32_e32 v9, 0, v16, vcc
	v_cndmask_b32_e32 v10, 0, v15, vcc
	;; [unrolled: 1-line block ×4, first 2 shown]
	v_cmp_gt_i32_e32 vcc, s61, v33
	s_and_b64 vcc, s[0:1], vcc
	v_add_u32_e32 v4, s62, v33
	s_lshl_b32 s6, s41, 6
	s_waitcnt vmcnt(1)
	v_cndmask_b32_e32 v13, 0, v20, vcc
	v_cndmask_b32_e32 v14, 0, v19, vcc
	v_cndmask_b32_e32 v15, 0, v18, vcc
	v_cndmask_b32_e32 v16, 0, v17, vcc
	v_cmp_gt_i32_e32 vcc, s61, v4
	s_and_b64 vcc, s[0:1], vcc
	s_waitcnt vmcnt(0)
	v_cndmask_b32_e32 v17, 0, v24, vcc
	v_cndmask_b32_e32 v18, 0, v23, vcc
	ds_read_b128 v[23:26], v6
	ds_read_b128 v[27:30], v7 offset:16384
	ds_read_b128 v[31:34], v7 offset:16640
	;; [unrolled: 1-line block ×3, first 2 shown]
	v_cndmask_b32_e32 v19, 0, v22, vcc
	v_cndmask_b32_e32 v20, 0, v21, vcc
	s_waitcnt lgkmcnt(2)
	v_dot2_f32_f16 v4, v23, v27, v118
	v_dot2_f32_f16 v5, v23, v28, v117
	;; [unrolled: 1-line block ×16, first 2 shown]
	s_waitcnt lgkmcnt(1)
	v_dot2_f32_f16 v53, v23, v31, v110
	v_dot2_f32_f16 v54, v23, v32, v109
	;; [unrolled: 1-line block ×16, first 2 shown]
	ds_read_b128 v[21:24], v6 offset:512
	s_waitcnt lgkmcnt(1)
	v_dot2_f32_f16 v79, v35, v27, v79
	v_dot2_f32_f16 v78, v35, v28, v78
	;; [unrolled: 1-line block ×16, first 2 shown]
	ds_read_b128 v[25:28], v7 offset:16896
	v_dot2_f32_f16 v70, v35, v31, v70
	v_dot2_f32_f16 v68, v35, v32, v68
	;; [unrolled: 1-line block ×16, first 2 shown]
	ds_read_b128 v[29:32], v7 offset:17152
	ds_read_b128 v[33:36], v6 offset:768
	s_waitcnt lgkmcnt(2)
	v_dot2_f32_f16 v4, v21, v25, v4
	v_dot2_f32_f16 v5, v21, v26, v5
	;; [unrolled: 1-line block ×16, first 2 shown]
	s_waitcnt lgkmcnt(1)
	v_dot2_f32_f16 v53, v21, v29, v53
	v_dot2_f32_f16 v54, v21, v30, v54
	;; [unrolled: 1-line block ×16, first 2 shown]
	ds_read_b128 v[21:24], v6 offset:1024
	s_waitcnt lgkmcnt(1)
	v_dot2_f32_f16 v79, v33, v25, v79
	v_dot2_f32_f16 v78, v33, v26, v78
	;; [unrolled: 1-line block ×16, first 2 shown]
	ds_read_b128 v[25:28], v7 offset:17408
	v_dot2_f32_f16 v70, v33, v29, v70
	v_dot2_f32_f16 v68, v33, v30, v68
	;; [unrolled: 1-line block ×16, first 2 shown]
	ds_read_b128 v[29:32], v7 offset:17664
	ds_read_b128 v[33:36], v6 offset:1280
	s_waitcnt lgkmcnt(2)
	v_dot2_f32_f16 v4, v21, v25, v4
	v_dot2_f32_f16 v5, v21, v26, v5
	;; [unrolled: 1-line block ×16, first 2 shown]
	s_waitcnt lgkmcnt(1)
	v_dot2_f32_f16 v53, v21, v29, v53
	v_dot2_f32_f16 v54, v21, v30, v54
	;; [unrolled: 1-line block ×16, first 2 shown]
	ds_read_b128 v[21:24], v6 offset:1536
	s_waitcnt lgkmcnt(1)
	v_dot2_f32_f16 v79, v33, v25, v79
	v_dot2_f32_f16 v78, v33, v26, v78
	;; [unrolled: 1-line block ×16, first 2 shown]
	ds_read_b128 v[25:28], v7 offset:17920
	v_dot2_f32_f16 v70, v33, v29, v70
	v_dot2_f32_f16 v68, v33, v30, v68
	;; [unrolled: 1-line block ×16, first 2 shown]
	ds_read_b128 v[29:32], v7 offset:18176
	ds_read_b128 v[33:36], v6 offset:1792
	s_waitcnt lgkmcnt(2)
	v_dot2_f32_f16 v4, v21, v25, v4
	v_dot2_f32_f16 v5, v21, v26, v5
	;; [unrolled: 1-line block ×16, first 2 shown]
	s_waitcnt lgkmcnt(1)
	v_dot2_f32_f16 v53, v21, v29, v53
	v_dot2_f32_f16 v54, v21, v30, v54
	;; [unrolled: 1-line block ×16, first 2 shown]
	ds_read_b128 v[21:24], v6 offset:2048
	s_waitcnt lgkmcnt(1)
	v_dot2_f32_f16 v79, v33, v25, v79
	v_dot2_f32_f16 v78, v33, v26, v78
	;; [unrolled: 1-line block ×16, first 2 shown]
	ds_read_b128 v[25:28], v7 offset:18432
	v_dot2_f32_f16 v70, v33, v29, v70
	v_dot2_f32_f16 v68, v33, v30, v68
	;; [unrolled: 1-line block ×16, first 2 shown]
	ds_read_b128 v[29:32], v7 offset:18688
	ds_read_b128 v[33:36], v6 offset:2304
	s_waitcnt lgkmcnt(2)
	v_dot2_f32_f16 v4, v21, v25, v4
	v_dot2_f32_f16 v5, v21, v26, v5
	;; [unrolled: 1-line block ×16, first 2 shown]
	s_waitcnt lgkmcnt(1)
	v_dot2_f32_f16 v53, v21, v29, v53
	v_dot2_f32_f16 v54, v21, v30, v54
	;; [unrolled: 1-line block ×16, first 2 shown]
	ds_read_b128 v[21:24], v6 offset:2560
	s_waitcnt lgkmcnt(1)
	v_dot2_f32_f16 v79, v33, v25, v79
	v_dot2_f32_f16 v78, v33, v26, v78
	;; [unrolled: 1-line block ×16, first 2 shown]
	ds_read_b128 v[25:28], v7 offset:18944
	v_dot2_f32_f16 v70, v33, v29, v70
	v_dot2_f32_f16 v68, v33, v30, v68
	;; [unrolled: 1-line block ×16, first 2 shown]
	ds_read_b128 v[29:32], v7 offset:19200
	ds_read_b128 v[33:36], v6 offset:2816
	s_waitcnt lgkmcnt(2)
	v_dot2_f32_f16 v4, v21, v25, v4
	v_dot2_f32_f16 v5, v21, v26, v5
	;; [unrolled: 1-line block ×16, first 2 shown]
	s_waitcnt lgkmcnt(1)
	v_dot2_f32_f16 v53, v21, v29, v53
	v_dot2_f32_f16 v54, v21, v30, v54
	;; [unrolled: 1-line block ×16, first 2 shown]
	ds_read_b128 v[21:24], v6 offset:3072
	s_waitcnt lgkmcnt(1)
	v_dot2_f32_f16 v79, v33, v25, v79
	v_dot2_f32_f16 v78, v33, v26, v78
	;; [unrolled: 1-line block ×16, first 2 shown]
	ds_read_b128 v[25:28], v7 offset:19456
	v_dot2_f32_f16 v70, v33, v29, v70
	v_dot2_f32_f16 v68, v33, v30, v68
	;; [unrolled: 1-line block ×16, first 2 shown]
	ds_read_b128 v[29:32], v7 offset:19712
	ds_read_b128 v[33:36], v6 offset:3328
	s_waitcnt lgkmcnt(2)
	v_dot2_f32_f16 v4, v21, v25, v4
	v_dot2_f32_f16 v5, v21, v26, v5
	;; [unrolled: 1-line block ×16, first 2 shown]
	s_waitcnt lgkmcnt(1)
	v_dot2_f32_f16 v53, v21, v29, v53
	v_dot2_f32_f16 v54, v21, v30, v54
	;; [unrolled: 1-line block ×16, first 2 shown]
	ds_read_b128 v[21:24], v6 offset:3584
	s_waitcnt lgkmcnt(1)
	v_dot2_f32_f16 v79, v33, v25, v79
	v_dot2_f32_f16 v78, v33, v26, v78
	;; [unrolled: 1-line block ×16, first 2 shown]
	ds_read_b128 v[25:28], v7 offset:19968
	v_dot2_f32_f16 v70, v33, v29, v70
	v_dot2_f32_f16 v68, v33, v30, v68
	;; [unrolled: 1-line block ×16, first 2 shown]
	ds_read_b128 v[29:32], v7 offset:20224
	ds_read_b128 v[33:36], v6 offset:3840
	s_waitcnt lgkmcnt(2)
	v_dot2_f32_f16 v4, v21, v25, v4
	v_dot2_f32_f16 v5, v21, v26, v5
	v_dot2_f32_f16 v39, v21, v27, v39
	v_dot2_f32_f16 v40, v21, v28, v40
	v_dot2_f32_f16 v41, v22, v25, v41
	v_dot2_f32_f16 v42, v22, v26, v42
	v_dot2_f32_f16 v43, v22, v27, v43
	v_dot2_f32_f16 v44, v22, v28, v44
	v_dot2_f32_f16 v45, v23, v25, v45
	v_dot2_f32_f16 v46, v23, v26, v46
	v_dot2_f32_f16 v47, v23, v27, v47
	v_dot2_f32_f16 v48, v23, v28, v48
	v_dot2_f32_f16 v49, v24, v25, v49
	v_dot2_f32_f16 v50, v24, v26, v50
	v_dot2_f32_f16 v51, v24, v27, v51
	v_dot2_f32_f16 v52, v24, v28, v52
	s_waitcnt lgkmcnt(1)
	v_dot2_f32_f16 v53, v21, v29, v53
	v_dot2_f32_f16 v54, v21, v30, v54
	;; [unrolled: 1-line block ×16, first 2 shown]
	ds_read_b128 v[21:24], v6 offset:4096
	s_waitcnt lgkmcnt(1)
	v_dot2_f32_f16 v79, v33, v25, v79
	v_dot2_f32_f16 v78, v33, v26, v78
	;; [unrolled: 1-line block ×16, first 2 shown]
	ds_read_b128 v[25:28], v7 offset:20480
	v_dot2_f32_f16 v70, v33, v29, v70
	v_dot2_f32_f16 v68, v33, v30, v68
	;; [unrolled: 1-line block ×16, first 2 shown]
	ds_read_b128 v[29:32], v7 offset:20736
	ds_read_b128 v[33:36], v6 offset:4352
	s_waitcnt lgkmcnt(2)
	v_dot2_f32_f16 v4, v21, v25, v4
	v_dot2_f32_f16 v5, v21, v26, v5
	;; [unrolled: 1-line block ×16, first 2 shown]
	s_waitcnt lgkmcnt(1)
	v_dot2_f32_f16 v53, v21, v29, v53
	v_dot2_f32_f16 v54, v21, v30, v54
	;; [unrolled: 1-line block ×16, first 2 shown]
	ds_read_b128 v[21:24], v6 offset:4608
	s_waitcnt lgkmcnt(1)
	v_dot2_f32_f16 v79, v33, v25, v79
	v_dot2_f32_f16 v78, v33, v26, v78
	;; [unrolled: 1-line block ×16, first 2 shown]
	ds_read_b128 v[25:28], v7 offset:20992
	v_dot2_f32_f16 v70, v33, v29, v70
	v_dot2_f32_f16 v68, v33, v30, v68
	;; [unrolled: 1-line block ×16, first 2 shown]
	ds_read_b128 v[29:32], v7 offset:21248
	ds_read_b128 v[33:36], v6 offset:4864
	s_waitcnt lgkmcnt(2)
	v_dot2_f32_f16 v4, v21, v25, v4
	v_dot2_f32_f16 v5, v21, v26, v5
	;; [unrolled: 1-line block ×16, first 2 shown]
	s_waitcnt lgkmcnt(1)
	v_dot2_f32_f16 v53, v21, v29, v53
	v_dot2_f32_f16 v54, v21, v30, v54
	;; [unrolled: 1-line block ×16, first 2 shown]
	ds_read_b128 v[21:24], v6 offset:5120
	s_waitcnt lgkmcnt(1)
	v_dot2_f32_f16 v79, v33, v25, v79
	v_dot2_f32_f16 v78, v33, v26, v78
	;; [unrolled: 1-line block ×16, first 2 shown]
	ds_read_b128 v[25:28], v7 offset:21504
	v_dot2_f32_f16 v70, v33, v29, v70
	v_dot2_f32_f16 v68, v33, v30, v68
	;; [unrolled: 1-line block ×16, first 2 shown]
	ds_read_b128 v[29:32], v7 offset:21760
	ds_read_b128 v[33:36], v6 offset:5376
	s_waitcnt lgkmcnt(2)
	v_dot2_f32_f16 v4, v21, v25, v4
	v_dot2_f32_f16 v5, v21, v26, v5
	;; [unrolled: 1-line block ×16, first 2 shown]
	s_waitcnt lgkmcnt(1)
	v_dot2_f32_f16 v53, v21, v29, v53
	v_dot2_f32_f16 v54, v21, v30, v54
	v_dot2_f32_f16 v82, v21, v31, v82
	v_dot2_f32_f16 v83, v21, v32, v83
	v_dot2_f32_f16 v95, v22, v29, v95
	v_dot2_f32_f16 v96, v22, v30, v96
	v_dot2_f32_f16 v98, v22, v31, v98
	v_dot2_f32_f16 v97, v22, v32, v97
	v_dot2_f32_f16 v94, v23, v29, v94
	v_dot2_f32_f16 v93, v23, v30, v93
	v_dot2_f32_f16 v92, v23, v31, v92
	v_dot2_f32_f16 v88, v23, v32, v88
	v_dot2_f32_f16 v87, v24, v29, v87
	v_dot2_f32_f16 v86, v24, v30, v86
	v_dot2_f32_f16 v85, v24, v31, v85
	v_dot2_f32_f16 v84, v24, v32, v84
	ds_read_b128 v[21:24], v6 offset:5632
	s_waitcnt lgkmcnt(1)
	v_dot2_f32_f16 v79, v33, v25, v79
	v_dot2_f32_f16 v78, v33, v26, v78
	;; [unrolled: 1-line block ×16, first 2 shown]
	ds_read_b128 v[25:28], v7 offset:22016
	v_dot2_f32_f16 v70, v33, v29, v70
	v_dot2_f32_f16 v68, v33, v30, v68
	;; [unrolled: 1-line block ×16, first 2 shown]
	ds_read_b128 v[29:32], v7 offset:22272
	ds_read_b128 v[33:36], v6 offset:5888
	s_waitcnt lgkmcnt(2)
	v_dot2_f32_f16 v4, v21, v25, v4
	v_dot2_f32_f16 v5, v21, v26, v5
	;; [unrolled: 1-line block ×16, first 2 shown]
	s_waitcnt lgkmcnt(1)
	v_dot2_f32_f16 v53, v21, v29, v53
	v_dot2_f32_f16 v54, v21, v30, v54
	v_dot2_f32_f16 v82, v21, v31, v82
	v_dot2_f32_f16 v83, v21, v32, v83
	v_dot2_f32_f16 v95, v22, v29, v95
	v_dot2_f32_f16 v96, v22, v30, v96
	v_dot2_f32_f16 v98, v22, v31, v98
	v_dot2_f32_f16 v97, v22, v32, v97
	v_dot2_f32_f16 v94, v23, v29, v94
	v_dot2_f32_f16 v93, v23, v30, v93
	v_dot2_f32_f16 v92, v23, v31, v92
	v_dot2_f32_f16 v88, v23, v32, v88
	v_dot2_f32_f16 v87, v24, v29, v87
	v_dot2_f32_f16 v86, v24, v30, v86
	v_dot2_f32_f16 v85, v24, v31, v85
	v_dot2_f32_f16 v84, v24, v32, v84
	ds_read_b128 v[21:24], v6 offset:6144
	s_waitcnt lgkmcnt(1)
	v_dot2_f32_f16 v79, v33, v25, v79
	v_dot2_f32_f16 v78, v33, v26, v78
	;; [unrolled: 1-line block ×16, first 2 shown]
	ds_read_b128 v[25:28], v7 offset:22528
	v_dot2_f32_f16 v70, v33, v29, v70
	v_dot2_f32_f16 v68, v33, v30, v68
	;; [unrolled: 1-line block ×16, first 2 shown]
	ds_read_b128 v[29:32], v7 offset:22784
	ds_read_b128 v[33:36], v6 offset:6400
	s_waitcnt lgkmcnt(2)
	v_dot2_f32_f16 v4, v21, v25, v4
	v_dot2_f32_f16 v5, v21, v26, v5
	;; [unrolled: 1-line block ×16, first 2 shown]
	s_waitcnt lgkmcnt(1)
	v_dot2_f32_f16 v53, v21, v29, v53
	v_dot2_f32_f16 v54, v21, v30, v54
	;; [unrolled: 1-line block ×16, first 2 shown]
	ds_read_b128 v[21:24], v6 offset:6656
	s_waitcnt lgkmcnt(1)
	v_dot2_f32_f16 v79, v33, v25, v79
	v_dot2_f32_f16 v78, v33, v26, v78
	;; [unrolled: 1-line block ×16, first 2 shown]
	ds_read_b128 v[25:28], v7 offset:23040
	v_dot2_f32_f16 v70, v33, v29, v70
	v_dot2_f32_f16 v68, v33, v30, v68
	;; [unrolled: 1-line block ×16, first 2 shown]
	ds_read_b128 v[29:32], v7 offset:23296
	ds_read_b128 v[33:36], v6 offset:6912
	s_waitcnt lgkmcnt(2)
	v_dot2_f32_f16 v4, v21, v25, v4
	v_dot2_f32_f16 v5, v21, v26, v5
	v_dot2_f32_f16 v39, v21, v27, v39
	v_dot2_f32_f16 v40, v21, v28, v40
	v_dot2_f32_f16 v41, v22, v25, v41
	v_dot2_f32_f16 v42, v22, v26, v42
	v_dot2_f32_f16 v43, v22, v27, v43
	v_dot2_f32_f16 v44, v22, v28, v44
	v_dot2_f32_f16 v45, v23, v25, v45
	v_dot2_f32_f16 v46, v23, v26, v46
	v_dot2_f32_f16 v47, v23, v27, v47
	v_dot2_f32_f16 v48, v23, v28, v48
	v_dot2_f32_f16 v49, v24, v25, v49
	v_dot2_f32_f16 v50, v24, v26, v50
	v_dot2_f32_f16 v51, v24, v27, v51
	v_dot2_f32_f16 v52, v24, v28, v52
	s_waitcnt lgkmcnt(1)
	v_dot2_f32_f16 v53, v21, v29, v53
	v_dot2_f32_f16 v54, v21, v30, v54
	;; [unrolled: 1-line block ×16, first 2 shown]
	ds_read_b128 v[21:24], v6 offset:7168
	s_waitcnt lgkmcnt(1)
	v_dot2_f32_f16 v79, v33, v25, v79
	v_dot2_f32_f16 v78, v33, v26, v78
	;; [unrolled: 1-line block ×16, first 2 shown]
	ds_read_b128 v[25:28], v7 offset:23552
	v_dot2_f32_f16 v70, v33, v29, v70
	v_dot2_f32_f16 v68, v33, v30, v68
	;; [unrolled: 1-line block ×16, first 2 shown]
	ds_read_b128 v[29:32], v7 offset:23808
	ds_read_b128 v[33:36], v6 offset:7424
	s_waitcnt lgkmcnt(2)
	v_dot2_f32_f16 v4, v21, v25, v4
	v_dot2_f32_f16 v5, v21, v26, v5
	;; [unrolled: 1-line block ×16, first 2 shown]
	s_waitcnt lgkmcnt(1)
	v_dot2_f32_f16 v53, v21, v29, v53
	v_dot2_f32_f16 v54, v21, v30, v54
	;; [unrolled: 1-line block ×16, first 2 shown]
	ds_read_b128 v[21:24], v6 offset:7680
	s_waitcnt lgkmcnt(1)
	v_dot2_f32_f16 v79, v33, v25, v79
	v_dot2_f32_f16 v78, v33, v26, v78
	;; [unrolled: 1-line block ×16, first 2 shown]
	ds_read_b128 v[25:28], v7 offset:24064
	v_dot2_f32_f16 v70, v33, v29, v70
	v_dot2_f32_f16 v68, v33, v30, v68
	;; [unrolled: 1-line block ×16, first 2 shown]
	ds_read_b128 v[29:32], v7 offset:24320
	ds_read_b128 v[33:36], v6 offset:7936
	ds_write2st64_b32 v8, v3, v2 offset0:32 offset1:34
	ds_write2st64_b32 v8, v1, v0 offset0:36 offset1:38
	;; [unrolled: 1-line block ×8, first 2 shown]
	s_waitcnt lgkmcnt(0)
	s_barrier
	ds_read_b128 v[0:3], v6 offset:8192
	ds_read_b128 v[8:11], v7 offset:24576
	;; [unrolled: 1-line block ×4, first 2 shown]
	v_dot2_f32_f16 v4, v21, v25, v4
	v_dot2_f32_f16 v5, v21, v26, v5
	;; [unrolled: 1-line block ×64, first 2 shown]
	s_waitcnt lgkmcnt(2)
	v_dot2_f32_f16 v4, v0, v8, v4
	v_dot2_f32_f16 v5, v0, v9, v5
	;; [unrolled: 1-line block ×16, first 2 shown]
	s_waitcnt lgkmcnt(1)
	v_dot2_f32_f16 v49, v0, v12, v53
	v_dot2_f32_f16 v50, v0, v13, v54
	;; [unrolled: 1-line block ×16, first 2 shown]
	ds_read_b128 v[0:3], v6 offset:8704
	s_waitcnt lgkmcnt(1)
	v_dot2_f32_f16 v79, v16, v8, v79
	v_dot2_f32_f16 v78, v16, v9, v78
	;; [unrolled: 1-line block ×16, first 2 shown]
	ds_read_b128 v[8:11], v7 offset:25088
	v_dot2_f32_f16 v59, v16, v12, v59
	v_dot2_f32_f16 v68, v16, v13, v68
	;; [unrolled: 1-line block ×16, first 2 shown]
	ds_read_b128 v[12:15], v7 offset:25344
	ds_read_b128 v[16:19], v6 offset:8960
	s_waitcnt lgkmcnt(2)
	v_dot2_f32_f16 v4, v0, v8, v4
	v_dot2_f32_f16 v5, v0, v9, v5
	v_dot2_f32_f16 v32, v0, v10, v32
	v_dot2_f32_f16 v36, v0, v11, v36
	v_dot2_f32_f16 v37, v1, v8, v37
	v_dot2_f32_f16 v38, v1, v9, v38
	v_dot2_f32_f16 v39, v1, v10, v39
	v_dot2_f32_f16 v40, v1, v11, v40
	v_dot2_f32_f16 v41, v2, v8, v41
	v_dot2_f32_f16 v42, v2, v9, v42
	v_dot2_f32_f16 v43, v2, v10, v43
	v_dot2_f32_f16 v44, v2, v11, v44
	v_dot2_f32_f16 v45, v3, v8, v45
	v_dot2_f32_f16 v46, v3, v9, v46
	v_dot2_f32_f16 v47, v3, v10, v47
	v_dot2_f32_f16 v48, v3, v11, v48
	s_waitcnt lgkmcnt(1)
	v_dot2_f32_f16 v49, v0, v12, v49
	v_dot2_f32_f16 v50, v0, v13, v50
	v_dot2_f32_f16 v51, v0, v14, v51
	v_dot2_f32_f16 v21, v0, v15, v21
	v_dot2_f32_f16 v52, v1, v12, v52
	v_dot2_f32_f16 v53, v1, v13, v53
	v_dot2_f32_f16 v54, v1, v14, v54
	v_dot2_f32_f16 v22, v1, v15, v22
	v_dot2_f32_f16 v55, v2, v12, v55
	v_dot2_f32_f16 v60, v2, v13, v60
	v_dot2_f32_f16 v64, v2, v14, v64
	v_dot2_f32_f16 v23, v2, v15, v23
	v_dot2_f32_f16 v70, v3, v12, v70
	v_dot2_f32_f16 v80, v3, v13, v80
	v_dot2_f32_f16 v81, v3, v14, v81
	v_dot2_f32_f16 v24, v3, v15, v24
	ds_read_b128 v[0:3], v6 offset:9216
	s_waitcnt lgkmcnt(1)
	v_dot2_f32_f16 v79, v16, v8, v79
	v_dot2_f32_f16 v78, v16, v9, v78
	v_dot2_f32_f16 v77, v16, v10, v77
	v_dot2_f32_f16 v76, v16, v11, v76
	v_dot2_f32_f16 v75, v17, v8, v75
	v_dot2_f32_f16 v74, v17, v9, v74
	v_dot2_f32_f16 v73, v17, v10, v73
	v_dot2_f32_f16 v72, v17, v11, v72
	v_dot2_f32_f16 v71, v18, v8, v71
	v_dot2_f32_f16 v69, v18, v9, v69
	v_dot2_f32_f16 v67, v18, v10, v67
	v_dot2_f32_f16 v65, v18, v11, v65
	v_dot2_f32_f16 v25, v19, v8, v25
	v_dot2_f32_f16 v26, v19, v9, v26
	v_dot2_f32_f16 v27, v19, v10, v27
	v_dot2_f32_f16 v28, v19, v11, v28
	ds_read_b128 v[8:11], v7 offset:25600
	v_dot2_f32_f16 v59, v16, v12, v59
	v_dot2_f32_f16 v68, v16, v13, v68
	;; [unrolled: 1-line block ×16, first 2 shown]
	ds_read_b128 v[12:15], v7 offset:25856
	ds_read_b128 v[16:19], v6 offset:9472
	s_waitcnt lgkmcnt(2)
	v_dot2_f32_f16 v4, v0, v8, v4
	v_dot2_f32_f16 v5, v0, v9, v5
	v_dot2_f32_f16 v32, v0, v10, v32
	v_dot2_f32_f16 v36, v0, v11, v36
	v_dot2_f32_f16 v37, v1, v8, v37
	v_dot2_f32_f16 v38, v1, v9, v38
	v_dot2_f32_f16 v39, v1, v10, v39
	v_dot2_f32_f16 v40, v1, v11, v40
	v_dot2_f32_f16 v41, v2, v8, v41
	v_dot2_f32_f16 v42, v2, v9, v42
	v_dot2_f32_f16 v43, v2, v10, v43
	v_dot2_f32_f16 v44, v2, v11, v44
	v_dot2_f32_f16 v45, v3, v8, v45
	v_dot2_f32_f16 v46, v3, v9, v46
	v_dot2_f32_f16 v47, v3, v10, v47
	v_dot2_f32_f16 v48, v3, v11, v48
	s_waitcnt lgkmcnt(1)
	v_dot2_f32_f16 v49, v0, v12, v49
	v_dot2_f32_f16 v50, v0, v13, v50
	;; [unrolled: 1-line block ×16, first 2 shown]
	ds_read_b128 v[0:3], v6 offset:9728
	s_waitcnt lgkmcnt(1)
	v_dot2_f32_f16 v79, v16, v8, v79
	v_dot2_f32_f16 v78, v16, v9, v78
	;; [unrolled: 1-line block ×16, first 2 shown]
	ds_read_b128 v[8:11], v7 offset:26112
	v_dot2_f32_f16 v59, v16, v12, v59
	v_dot2_f32_f16 v68, v16, v13, v68
	;; [unrolled: 1-line block ×16, first 2 shown]
	ds_read_b128 v[12:15], v7 offset:26368
	ds_read_b128 v[16:19], v6 offset:9984
	s_waitcnt lgkmcnt(2)
	v_dot2_f32_f16 v4, v0, v8, v4
	v_dot2_f32_f16 v5, v0, v9, v5
	;; [unrolled: 1-line block ×16, first 2 shown]
	s_waitcnt lgkmcnt(1)
	v_dot2_f32_f16 v49, v0, v12, v49
	v_dot2_f32_f16 v50, v0, v13, v50
	;; [unrolled: 1-line block ×16, first 2 shown]
	ds_read_b128 v[0:3], v6 offset:10240
	s_waitcnt lgkmcnt(1)
	v_dot2_f32_f16 v79, v16, v8, v79
	v_dot2_f32_f16 v78, v16, v9, v78
	;; [unrolled: 1-line block ×16, first 2 shown]
	ds_read_b128 v[8:11], v7 offset:26624
	v_dot2_f32_f16 v59, v16, v12, v59
	v_dot2_f32_f16 v68, v16, v13, v68
	;; [unrolled: 1-line block ×16, first 2 shown]
	ds_read_b128 v[12:15], v7 offset:26880
	ds_read_b128 v[16:19], v6 offset:10496
	s_waitcnt lgkmcnt(2)
	v_dot2_f32_f16 v4, v0, v8, v4
	v_dot2_f32_f16 v5, v0, v9, v5
	;; [unrolled: 1-line block ×16, first 2 shown]
	s_waitcnt lgkmcnt(1)
	v_dot2_f32_f16 v49, v0, v12, v49
	v_dot2_f32_f16 v50, v0, v13, v50
	;; [unrolled: 1-line block ×16, first 2 shown]
	ds_read_b128 v[0:3], v6 offset:10752
	s_waitcnt lgkmcnt(1)
	v_dot2_f32_f16 v79, v16, v8, v79
	v_dot2_f32_f16 v78, v16, v9, v78
	;; [unrolled: 1-line block ×16, first 2 shown]
	ds_read_b128 v[8:11], v7 offset:27136
	v_dot2_f32_f16 v59, v16, v12, v59
	v_dot2_f32_f16 v68, v16, v13, v68
	;; [unrolled: 1-line block ×16, first 2 shown]
	ds_read_b128 v[12:15], v7 offset:27392
	ds_read_b128 v[16:19], v6 offset:11008
	s_waitcnt lgkmcnt(2)
	v_dot2_f32_f16 v4, v0, v8, v4
	v_dot2_f32_f16 v5, v0, v9, v5
	;; [unrolled: 1-line block ×16, first 2 shown]
	s_waitcnt lgkmcnt(1)
	v_dot2_f32_f16 v49, v0, v12, v49
	v_dot2_f32_f16 v50, v0, v13, v50
	;; [unrolled: 1-line block ×16, first 2 shown]
	ds_read_b128 v[0:3], v6 offset:11264
	s_waitcnt lgkmcnt(1)
	v_dot2_f32_f16 v79, v16, v8, v79
	v_dot2_f32_f16 v78, v16, v9, v78
	;; [unrolled: 1-line block ×16, first 2 shown]
	ds_read_b128 v[8:11], v7 offset:27648
	v_dot2_f32_f16 v59, v16, v12, v59
	v_dot2_f32_f16 v68, v16, v13, v68
	;; [unrolled: 1-line block ×16, first 2 shown]
	ds_read_b128 v[12:15], v7 offset:27904
	ds_read_b128 v[16:19], v6 offset:11520
	s_waitcnt lgkmcnt(2)
	v_dot2_f32_f16 v4, v0, v8, v4
	v_dot2_f32_f16 v5, v0, v9, v5
	;; [unrolled: 1-line block ×16, first 2 shown]
	s_waitcnt lgkmcnt(1)
	v_dot2_f32_f16 v49, v0, v12, v49
	v_dot2_f32_f16 v50, v0, v13, v50
	;; [unrolled: 1-line block ×16, first 2 shown]
	ds_read_b128 v[0:3], v6 offset:11776
	s_waitcnt lgkmcnt(1)
	v_dot2_f32_f16 v79, v16, v8, v79
	v_dot2_f32_f16 v78, v16, v9, v78
	;; [unrolled: 1-line block ×16, first 2 shown]
	ds_read_b128 v[8:11], v7 offset:28160
	v_dot2_f32_f16 v59, v16, v12, v59
	v_dot2_f32_f16 v68, v16, v13, v68
	;; [unrolled: 1-line block ×16, first 2 shown]
	ds_read_b128 v[12:15], v7 offset:28416
	ds_read_b128 v[16:19], v6 offset:12032
	s_waitcnt lgkmcnt(2)
	v_dot2_f32_f16 v4, v0, v8, v4
	v_dot2_f32_f16 v5, v0, v9, v5
	v_dot2_f32_f16 v32, v0, v10, v32
	v_dot2_f32_f16 v36, v0, v11, v36
	v_dot2_f32_f16 v37, v1, v8, v37
	v_dot2_f32_f16 v38, v1, v9, v38
	v_dot2_f32_f16 v39, v1, v10, v39
	v_dot2_f32_f16 v40, v1, v11, v40
	v_dot2_f32_f16 v41, v2, v8, v41
	v_dot2_f32_f16 v42, v2, v9, v42
	v_dot2_f32_f16 v43, v2, v10, v43
	v_dot2_f32_f16 v44, v2, v11, v44
	v_dot2_f32_f16 v45, v3, v8, v45
	v_dot2_f32_f16 v46, v3, v9, v46
	v_dot2_f32_f16 v47, v3, v10, v47
	v_dot2_f32_f16 v48, v3, v11, v48
	s_waitcnt lgkmcnt(1)
	v_dot2_f32_f16 v49, v0, v12, v49
	v_dot2_f32_f16 v50, v0, v13, v50
	;; [unrolled: 1-line block ×16, first 2 shown]
	ds_read_b128 v[0:3], v6 offset:12288
	s_waitcnt lgkmcnt(1)
	v_dot2_f32_f16 v79, v16, v8, v79
	v_dot2_f32_f16 v78, v16, v9, v78
	;; [unrolled: 1-line block ×16, first 2 shown]
	ds_read_b128 v[8:11], v7 offset:28672
	v_dot2_f32_f16 v59, v16, v12, v59
	v_dot2_f32_f16 v68, v16, v13, v68
	;; [unrolled: 1-line block ×16, first 2 shown]
	ds_read_b128 v[12:15], v7 offset:28928
	ds_read_b128 v[16:19], v6 offset:12544
	s_waitcnt lgkmcnt(2)
	v_dot2_f32_f16 v4, v0, v8, v4
	v_dot2_f32_f16 v5, v0, v9, v5
	;; [unrolled: 1-line block ×16, first 2 shown]
	s_waitcnt lgkmcnt(1)
	v_dot2_f32_f16 v49, v0, v12, v49
	v_dot2_f32_f16 v50, v0, v13, v50
	v_dot2_f32_f16 v51, v0, v14, v51
	v_dot2_f32_f16 v21, v0, v15, v21
	v_dot2_f32_f16 v52, v1, v12, v52
	v_dot2_f32_f16 v53, v1, v13, v53
	v_dot2_f32_f16 v54, v1, v14, v54
	v_dot2_f32_f16 v22, v1, v15, v22
	v_dot2_f32_f16 v55, v2, v12, v55
	v_dot2_f32_f16 v60, v2, v13, v60
	v_dot2_f32_f16 v64, v2, v14, v64
	v_dot2_f32_f16 v23, v2, v15, v23
	v_dot2_f32_f16 v70, v3, v12, v70
	v_dot2_f32_f16 v80, v3, v13, v80
	v_dot2_f32_f16 v81, v3, v14, v81
	v_dot2_f32_f16 v24, v3, v15, v24
	ds_read_b128 v[0:3], v6 offset:12800
	s_waitcnt lgkmcnt(1)
	v_dot2_f32_f16 v79, v16, v8, v79
	v_dot2_f32_f16 v78, v16, v9, v78
	;; [unrolled: 1-line block ×16, first 2 shown]
	ds_read_b128 v[8:11], v7 offset:29184
	v_dot2_f32_f16 v59, v16, v12, v59
	v_dot2_f32_f16 v68, v16, v13, v68
	;; [unrolled: 1-line block ×16, first 2 shown]
	ds_read_b128 v[12:15], v7 offset:29440
	ds_read_b128 v[16:19], v6 offset:13056
	s_waitcnt lgkmcnt(2)
	v_dot2_f32_f16 v4, v0, v8, v4
	v_dot2_f32_f16 v5, v0, v9, v5
	;; [unrolled: 1-line block ×16, first 2 shown]
	s_waitcnt lgkmcnt(1)
	v_dot2_f32_f16 v49, v0, v12, v49
	v_dot2_f32_f16 v50, v0, v13, v50
	v_dot2_f32_f16 v51, v0, v14, v51
	v_dot2_f32_f16 v21, v0, v15, v21
	v_dot2_f32_f16 v52, v1, v12, v52
	v_dot2_f32_f16 v53, v1, v13, v53
	v_dot2_f32_f16 v54, v1, v14, v54
	v_dot2_f32_f16 v22, v1, v15, v22
	v_dot2_f32_f16 v55, v2, v12, v55
	v_dot2_f32_f16 v60, v2, v13, v60
	v_dot2_f32_f16 v64, v2, v14, v64
	v_dot2_f32_f16 v23, v2, v15, v23
	v_dot2_f32_f16 v70, v3, v12, v70
	v_dot2_f32_f16 v80, v3, v13, v80
	v_dot2_f32_f16 v81, v3, v14, v81
	v_dot2_f32_f16 v24, v3, v15, v24
	ds_read_b128 v[0:3], v6 offset:13312
	s_waitcnt lgkmcnt(1)
	v_dot2_f32_f16 v79, v16, v8, v79
	v_dot2_f32_f16 v78, v16, v9, v78
	;; [unrolled: 1-line block ×16, first 2 shown]
	ds_read_b128 v[8:11], v7 offset:29696
	v_dot2_f32_f16 v59, v16, v12, v59
	v_dot2_f32_f16 v68, v16, v13, v68
	;; [unrolled: 1-line block ×16, first 2 shown]
	ds_read_b128 v[12:15], v7 offset:29952
	ds_read_b128 v[16:19], v6 offset:13568
	s_waitcnt lgkmcnt(2)
	v_dot2_f32_f16 v4, v0, v8, v4
	v_dot2_f32_f16 v5, v0, v9, v5
	;; [unrolled: 1-line block ×16, first 2 shown]
	s_waitcnt lgkmcnt(1)
	v_dot2_f32_f16 v49, v0, v12, v49
	v_dot2_f32_f16 v50, v0, v13, v50
	;; [unrolled: 1-line block ×16, first 2 shown]
	ds_read_b128 v[0:3], v6 offset:13824
	s_waitcnt lgkmcnt(1)
	v_dot2_f32_f16 v79, v16, v8, v79
	v_dot2_f32_f16 v78, v16, v9, v78
	;; [unrolled: 1-line block ×16, first 2 shown]
	ds_read_b128 v[8:11], v7 offset:30208
	v_dot2_f32_f16 v59, v16, v12, v59
	v_dot2_f32_f16 v68, v16, v13, v68
	;; [unrolled: 1-line block ×16, first 2 shown]
	ds_read_b128 v[12:15], v7 offset:30464
	ds_read_b128 v[16:19], v6 offset:14080
	s_waitcnt lgkmcnt(2)
	v_dot2_f32_f16 v4, v0, v8, v4
	v_dot2_f32_f16 v5, v0, v9, v5
	;; [unrolled: 1-line block ×16, first 2 shown]
	s_waitcnt lgkmcnt(1)
	v_dot2_f32_f16 v49, v0, v12, v49
	v_dot2_f32_f16 v50, v0, v13, v50
	;; [unrolled: 1-line block ×16, first 2 shown]
	ds_read_b128 v[0:3], v6 offset:14336
	s_waitcnt lgkmcnt(1)
	v_dot2_f32_f16 v79, v16, v8, v79
	v_dot2_f32_f16 v78, v16, v9, v78
	;; [unrolled: 1-line block ×16, first 2 shown]
	ds_read_b128 v[8:11], v7 offset:30720
	v_dot2_f32_f16 v59, v16, v12, v59
	v_dot2_f32_f16 v68, v16, v13, v68
	;; [unrolled: 1-line block ×16, first 2 shown]
	ds_read_b128 v[12:15], v7 offset:30976
	ds_read_b128 v[16:19], v6 offset:14592
	s_waitcnt lgkmcnt(2)
	v_dot2_f32_f16 v4, v0, v8, v4
	v_dot2_f32_f16 v5, v0, v9, v5
	;; [unrolled: 1-line block ×16, first 2 shown]
	s_waitcnt lgkmcnt(1)
	v_dot2_f32_f16 v49, v0, v12, v49
	v_dot2_f32_f16 v50, v0, v13, v50
	;; [unrolled: 1-line block ×16, first 2 shown]
	ds_read_b128 v[0:3], v6 offset:14848
	s_waitcnt lgkmcnt(1)
	v_dot2_f32_f16 v79, v16, v8, v79
	v_dot2_f32_f16 v78, v16, v9, v78
	v_dot2_f32_f16 v77, v16, v10, v77
	v_dot2_f32_f16 v76, v16, v11, v76
	v_dot2_f32_f16 v75, v17, v8, v75
	v_dot2_f32_f16 v74, v17, v9, v74
	v_dot2_f32_f16 v73, v17, v10, v73
	v_dot2_f32_f16 v72, v17, v11, v72
	v_dot2_f32_f16 v71, v18, v8, v71
	v_dot2_f32_f16 v69, v18, v9, v69
	v_dot2_f32_f16 v67, v18, v10, v67
	v_dot2_f32_f16 v65, v18, v11, v65
	v_dot2_f32_f16 v25, v19, v8, v25
	v_dot2_f32_f16 v26, v19, v9, v26
	v_dot2_f32_f16 v27, v19, v10, v27
	v_dot2_f32_f16 v28, v19, v11, v28
	ds_read_b128 v[8:11], v7 offset:31232
	v_dot2_f32_f16 v59, v16, v12, v59
	v_dot2_f32_f16 v68, v16, v13, v68
	;; [unrolled: 1-line block ×16, first 2 shown]
	ds_read_b128 v[12:15], v7 offset:31488
	ds_read_b128 v[16:19], v6 offset:15104
	s_waitcnt lgkmcnt(2)
	v_dot2_f32_f16 v4, v0, v8, v4
	v_dot2_f32_f16 v5, v0, v9, v5
	;; [unrolled: 1-line block ×16, first 2 shown]
	s_waitcnt lgkmcnt(1)
	v_dot2_f32_f16 v49, v0, v12, v49
	v_dot2_f32_f16 v50, v0, v13, v50
	;; [unrolled: 1-line block ×16, first 2 shown]
	ds_read_b128 v[0:3], v6 offset:15360
	s_waitcnt lgkmcnt(1)
	v_dot2_f32_f16 v79, v16, v8, v79
	v_dot2_f32_f16 v78, v16, v9, v78
	;; [unrolled: 1-line block ×16, first 2 shown]
	ds_read_b128 v[8:11], v7 offset:31744
	v_dot2_f32_f16 v59, v16, v12, v59
	v_dot2_f32_f16 v68, v16, v13, v68
	v_dot2_f32_f16 v66, v16, v14, v66
	v_dot2_f32_f16 v33, v16, v15, v33
	v_dot2_f32_f16 v63, v17, v12, v63
	v_dot2_f32_f16 v62, v17, v13, v62
	v_dot2_f32_f16 v61, v17, v14, v61
	v_dot2_f32_f16 v34, v17, v15, v34
	v_dot2_f32_f16 v58, v18, v12, v58
	v_dot2_f32_f16 v57, v18, v13, v57
	v_dot2_f32_f16 v56, v18, v14, v56
	v_dot2_f32_f16 v35, v18, v15, v35
	v_dot2_f32_f16 v29, v19, v12, v29
	v_dot2_f32_f16 v30, v19, v13, v30
	v_dot2_f32_f16 v20, v19, v14, v20
	v_dot2_f32_f16 v31, v19, v15, v31
	ds_read_b128 v[12:15], v7 offset:32000
	ds_read_b128 v[16:19], v6 offset:15616
	s_waitcnt lgkmcnt(2)
	v_dot2_f32_f16 v4, v0, v8, v4
	v_dot2_f32_f16 v5, v0, v9, v5
	;; [unrolled: 1-line block ×16, first 2 shown]
	s_waitcnt lgkmcnt(1)
	v_dot2_f32_f16 v89, v0, v12, v49
	v_dot2_f32_f16 v50, v0, v13, v50
	;; [unrolled: 1-line block ×16, first 2 shown]
	ds_read_b128 v[0:3], v6 offset:15872
	ds_read_b128 v[44:47], v7 offset:32256
	s_waitcnt lgkmcnt(2)
	v_dot2_f32_f16 v106, v17, v12, v63
	v_dot2_f32_f16 v107, v17, v13, v62
	;; [unrolled: 1-line block ×3, first 2 shown]
	ds_read_b128 v[52:55], v7 offset:32512
	ds_read_b128 v[61:64], v6 offset:16128
	s_waitcnt lgkmcnt(2)
	v_dot2_f32_f16 v116, v0, v44, v4
	buffer_load_dword v4, off, s[80:83], 0 offset:148 ; 4-byte Folded Reload
	v_dot2_f32_f16 v117, v0, v45, v5
	buffer_load_dword v5, off, s[80:83], 0 offset:144 ; 4-byte Folded Reload
	v_dot2_f32_f16 v115, v19, v15, v31
	v_dot2_f32_f16 v109, v17, v15, v34
	;; [unrolled: 1-line block ×8, first 2 shown]
	s_waitcnt lgkmcnt(0)
	v_dot2_f32_f16 v9, v63, v47, v65
	v_dot2_f32_f16 v79, v16, v8, v79
	;; [unrolled: 1-line block ×69, first 2 shown]
	s_waitcnt vmcnt(1)
	v_lshl_or_b32 v31, s43, 7, v4
	v_mul_lo_u32 v4, v31, s40
	s_waitcnt vmcnt(0)
	v_lshl_add_u32 v34, s42, 7, v5
	v_cmp_gt_i32_e32 vcc, s33, v34
	v_cmp_gt_i32_e64 s[2:3], s19, v31
	v_mad_u64_u32 v[4:5], s[0:1], v34, s41, v[4:5]
	s_and_b64 s[0:1], s[2:3], vcc
	v_or_b32_e32 v59, 1, v31
	v_lshlrev_b32_e32 v5, 1, v4
	buffer_load_dwordx2 v[20:21], v5, s[24:27], 0 offen
	v_add_u32_e32 v6, s40, v4
	v_add_u32_e32 v65, s40, v6
	v_lshlrev_b32_e32 v0, 1, v6
	v_lshlrev_b32_e32 v2, 1, v65
	v_add_lshl_u32 v12, v65, s6, 1
	v_add_u32_e32 v45, s40, v65
	buffer_load_dwordx2 v[70:71], v0, s[24:27], 0 offen
	buffer_load_dwordx2 v[82:83], v2, s[24:27], 0 offen
	buffer_load_dwordx2 v[84:85], v12, s[24:27], 0 offen
	v_add_lshl_u32 v0, v6, s6, 1
	v_dot2_f32_f16 v2, v61, v54, v66
	v_dot2_f32_f16 v66, v63, v53, v57
	v_add_lshl_u32 v53, v45, s6, 1
	buffer_load_dwordx2 v[88:89], v53, s[24:27], 0 offen
	buffer_load_dwordx2 v[77:78], v0, s[24:27], 0 offen
	v_add_lshl_u32 v5, v4, s6, 1
	buffer_load_dwordx2 v[48:49], v5, s[24:27], 0 offen
	v_dot2_f32_f16 v5, v62, v47, v72
	v_lshlrev_b32_e32 v47, 1, v45
	buffer_load_dwordx2 v[86:87], v47, s[24:27], 0 offen
	v_dot2_f32_f16 v4, v62, v46, v73
	v_dot2_f32_f16 v0, v61, v46, v99
	v_dot2_f32_f16 v46, v62, v52, v106
	v_dot2_f32_f16 v12, v63, v54, v110
	v_dot2_f32_f16 v16, v3, v54, v81
	v_dot2_f32_f16 v17, v3, v55, v97
	v_dot2_f32_f16 v3, v61, v55, v105
	v_dot2_f32_f16 v7, v62, v55, v109
	v_dot2_f32_f16 v6, v62, v54, v108
	s_waitcnt vmcnt(7)
	v_cndmask_b32_e64 v73, 0, v21, s[0:1]
	v_cndmask_b32_e64 v21, 0, v20, s[0:1]
	v_cvt_f32_f16_e32 v47, v21
	v_cvt_f32_f16_sdwa v52, v21 dst_sel:DWORD dst_unused:UNUSED_PAD src0_sel:WORD_1
	v_dot2_f32_f16 v21, v64, v55, v115
	v_dot2_f32_f16 v20, v64, v54, v114
	v_add_f32_e32 v47, v116, v47
	v_max_f32_e32 v75, 0, v47
	v_add_f32_e32 v47, v117, v52
	v_add_u32_e32 v52, 64, v34
	v_cmp_gt_i32_e64 s[0:1], s33, v52
	s_and_b64 s[2:3], s[2:3], s[0:1]
	v_max_f32_e32 v80, 0, v47
	s_waitcnt vmcnt(1)
	v_cndmask_b32_e64 v63, 0, v49, s[2:3]
	v_cndmask_b32_e64 v49, 0, v48, s[2:3]
	v_cvt_f32_f16_e32 v53, v49
	v_mad_u64_u32 v[47:48], s[2:3], s40, 61, v[45:46]
	v_cmp_gt_i32_e64 s[2:3], s19, v59
	v_add_f32_e32 v45, v121, v53
	v_cvt_f32_f16_sdwa v53, v49 dst_sel:DWORD dst_unused:UNUSED_PAD src0_sel:WORD_1
	v_max_f32_e32 v74, 0, v45
	v_lshlrev_b32_e32 v45, 1, v47
	buffer_load_dwordx2 v[48:49], v45, s[24:27], 0 offen
	s_and_b64 s[4:5], s[2:3], vcc
	v_add_lshl_u32 v57, v47, s6, 1
	buffer_load_dwordx2 v[90:91], v57, s[24:27], 0 offen
	v_add_f32_e32 v45, v122, v53
	v_cndmask_b32_e64 v53, 0, v70, s[4:5]
	v_cvt_f32_f16_e32 v55, v53
	v_max_f32_e32 v81, 0, v45
	s_and_b64 s[2:3], s[2:3], s[0:1]
	v_add_u32_e32 v47, s40, v47
	v_add_f32_e32 v45, v118, v55
	v_max_f32_e32 v62, 0, v45
	v_cvt_f32_f16_sdwa v45, v53 dst_sel:DWORD dst_unused:UNUSED_PAD src0_sel:WORD_1
	v_cndmask_b32_e64 v53, 0, v77, s[2:3]
	v_cvt_f32_f16_e32 v55, v53
	v_lshlrev_b32_e32 v57, 1, v47
	buffer_load_dwordx2 v[92:93], v57, s[24:27], 0 offen
	v_add_f32_e32 v45, v119, v45
	v_max_f32_e32 v72, 0, v45
	v_add_f32_e32 v45, v123, v55
	v_cvt_f32_f16_sdwa v53, v53 dst_sel:DWORD dst_unused:UNUSED_PAD src0_sel:WORD_1
	v_or_b32_e32 v55, 2, v31
	v_cndmask_b32_e64 v76, 0, v78, s[2:3]
	v_cmp_gt_i32_e64 s[2:3], s19, v55
	v_add_lshl_u32 v57, v47, s6, 1
	v_cndmask_b32_e64 v54, 0, v71, s[4:5]
	buffer_load_dwordx2 v[94:95], v57, s[24:27], 0 offen
	s_and_b64 s[4:5], s[2:3], vcc
	v_cndmask_b32_e64 v57, 0, v82, s[4:5]
	v_max_f32_e32 v99, 0, v45
	v_add_f32_e32 v45, v124, v53
	v_cvt_f32_f16_sdwa v53, v57 dst_sel:DWORD dst_unused:UNUSED_PAD src0_sel:WORD_1
	v_cvt_f32_f16_e32 v61, v57
	v_add_u32_e32 v47, s40, v47
	v_max_f32_e32 v100, 0, v45
	v_add_f32_e32 v36, v36, v53
	v_add_f32_e32 v45, v120, v61
	v_lshlrev_b32_e32 v57, 1, v47
	s_and_b64 s[2:3], s[2:3], s[0:1]
	v_max_f32_e32 v79, 0, v36
	v_add_lshl_u32 v36, v47, s6, 1
	v_cndmask_b32_e64 v67, 0, v83, s[4:5]
	buffer_load_dwordx2 v[96:97], v57, s[24:27], 0 offen
	v_max_f32_e32 v78, 0, v45
	v_cndmask_b32_e64 v45, 0, v84, s[2:3]
	buffer_load_dwordx2 v[83:84], v36, s[24:27], 0 offen
	v_or_b32_e32 v57, 3, v31
	v_cndmask_b32_e64 v65, 0, v85, s[2:3]
	v_cmp_gt_i32_e64 s[2:3], s19, v57
	v_add_u32_e32 v47, s40, v47
	s_and_b64 s[4:5], s[2:3], vcc
	v_lshlrev_b32_e32 v70, 1, v47
	v_cvt_f32_f16_e32 v53, v45
	s_waitcnt vmcnt(6)
	v_cndmask_b32_e64 v61, 0, v86, s[4:5]
	buffer_load_dwordx2 v[85:86], v70, s[24:27], 0 offen
	v_cvt_f32_f16_sdwa v45, v45 dst_sel:DWORD dst_unused:UNUSED_PAD src0_sel:WORD_1
	v_add_f32_e32 v36, v125, v53
	s_and_b64 s[2:3], s[2:3], s[0:1]
	v_add_lshl_u32 v47, v47, s6, 1
	v_cndmask_b32_e64 v53, 0, v87, s[4:5]
	v_max_f32_e32 v82, 0, v36
	v_add_f32_e32 v36, v126, v45
	v_cndmask_b32_e64 v45, 0, v88, s[2:3]
	buffer_load_dwordx2 v[87:88], v47, s[24:27], 0 offen
	v_max_f32_e32 v101, 0, v36
	v_cvt_f32_f16_sdwa v36, v61 dst_sel:DWORD dst_unused:UNUSED_PAD src0_sel:WORD_1
	v_cvt_f32_f16_e32 v47, v45
	v_cndmask_b32_e64 v77, 0, v89, s[2:3]
	v_cvt_f32_f16_e32 v64, v61
	v_add_f32_e32 v26, v26, v36
	v_max_f32_e32 v71, 0, v26
	v_or_b32_e32 v26, 64, v31
	v_cmp_gt_i32_e64 s[2:3], s19, v26
	s_and_b64 s[4:5], s[2:3], vcc
	v_cvt_f32_f16_sdwa v36, v45 dst_sel:DWORD dst_unused:UNUSED_PAD src0_sel:WORD_1
	v_add_f32_e32 v35, v35, v47
	s_and_b64 s[2:3], s[2:3], s[0:1]
	v_add_f32_e32 v27, v27, v64
	v_add_f32_e32 v28, v28, v36
	v_max_f32_e32 v102, 0, v28
	s_waitcnt vmcnt(7)
	v_cndmask_b32_e64 v45, 0, v48, s[4:5]
	v_cvt_f32_f16_e32 v47, v45
	v_max_f32_e32 v89, 0, v35
	s_waitcnt vmcnt(6)
	v_cndmask_b32_e64 v35, 0, v91, s[2:3]
	v_cndmask_b32_e64 v36, 0, v90, s[2:3]
	v_add_f32_e32 v28, v29, v47
	v_cvt_f32_f16_sdwa v29, v45 dst_sel:DWORD dst_unused:UNUSED_PAD src0_sel:WORD_1
	v_max_f32_e32 v70, 0, v27
	v_cndmask_b32_e64 v27, 0, v49, s[4:5]
	v_cvt_f32_f16_e32 v45, v36
	v_add_f32_e32 v29, v30, v29
	v_add_u32_e32 v30, 0x41, v31
	v_cmp_gt_i32_e64 s[2:3], s19, v30
	s_and_b64 s[4:5], s[2:3], vcc
	v_cvt_f32_f16_sdwa v48, v36 dst_sel:DWORD dst_unused:UNUSED_PAD src0_sel:WORD_1
	s_and_b64 s[2:3], s[2:3], s[0:1]
	s_waitcnt vmcnt(5)
	v_cndmask_b32_e64 v49, 0, v92, s[4:5]
	v_cvt_f32_f16_e32 v61, v49
	v_add_f32_e32 v47, v98, v45
	v_add_f32_e32 v37, v37, v48
	v_cvt_f32_f16_sdwa v48, v49 dst_sel:DWORD dst_unused:UNUSED_PAD src0_sel:WORD_1
	v_max_f32_e32 v36, 0, v47
	v_add_f32_e32 v47, v42, v61
	v_cndmask_b32_e64 v45, 0, v93, s[4:5]
	v_add_f32_e32 v43, v43, v48
	v_max_f32_e32 v48, 0, v43
	s_waitcnt vmcnt(4)
	v_cndmask_b32_e64 v49, 0, v94, s[2:3]
	v_cvt_f32_f16_e32 v61, v49
	v_cndmask_b32_e64 v42, 0, v95, s[2:3]
	v_max_f32_e32 v47, 0, v47
	v_max_f32_e32 v37, 0, v37
	v_add_f32_e32 v43, v46, v61
	v_cvt_f32_f16_sdwa v61, v49 dst_sel:DWORD dst_unused:UNUSED_PAD src0_sel:WORD_1
	v_add_u32_e32 v46, 0x42, v31
	v_cmp_gt_i32_e64 s[2:3], s19, v46
	s_and_b64 s[4:5], s[2:3], vcc
	s_and_b64 s[2:3], s[2:3], s[0:1]
	v_add_f32_e32 v44, v44, v61
	v_max_f32_e32 v43, 0, v43
	v_max_f32_e32 v44, 0, v44
	;; [unrolled: 1-line block ×4, first 2 shown]
	s_waitcnt vmcnt(3)
	v_cndmask_b32_e64 v64, 0, v96, s[4:5]
	v_cvt_f32_f16_e32 v90, v64
	v_cvt_f32_f16_sdwa v64, v64 dst_sel:DWORD dst_unused:UNUSED_PAD src0_sel:WORD_1
	s_waitcnt vmcnt(2)
	v_cndmask_b32_e64 v83, 0, v83, s[2:3]
	v_cndmask_b32_e64 v61, 0, v84, s[2:3]
	v_cvt_f32_f16_e32 v84, v83
	v_add_f32_e32 v51, v51, v64
	v_cvt_f32_f16_sdwa v83, v83 dst_sel:DWORD dst_unused:UNUSED_PAD src0_sel:WORD_1
	v_cndmask_b32_e64 v49, 0, v97, s[4:5]
	v_add_f32_e32 v64, v58, v84
	v_add_u32_e32 v58, 0x43, v31
	v_cmp_gt_i32_e64 s[2:3], s19, v58
	s_and_b64 vcc, s[2:3], vcc
	s_waitcnt vmcnt(1)
	v_cndmask_b32_e32 v85, 0, v85, vcc
	v_cndmask_b32_e32 v84, 0, v86, vcc
	v_cvt_f32_f16_e32 v86, v85
	v_cvt_f32_f16_sdwa v85, v85 dst_sel:DWORD dst_unused:UNUSED_PAD src0_sel:WORD_1
	s_and_b64 vcc, s[2:3], s[0:1]
	v_add_f32_e32 v66, v66, v83
	v_add_f32_e32 v56, v56, v86
	;; [unrolled: 1-line block ×3, first 2 shown]
	s_waitcnt vmcnt(0)
	v_cndmask_b32_e32 v86, 0, v87, vcc
	v_cvt_f32_f16_e32 v87, v86
	v_cvt_f32_f16_sdwa v85, v86 dst_sel:DWORD dst_unused:UNUSED_PAD src0_sel:WORD_1
	v_max_f32_e32 v86, 0, v60
	v_max_f32_e32 v83, 0, v56
	v_add_f32_e32 v60, v69, v87
	v_max_f32_e32 v87, 0, v60
	v_add_f32_e32 v60, v68, v85
	v_cvt_f32_f16_sdwa v68, v73 dst_sel:DWORD dst_unused:UNUSED_PAD src0_sel:WORD_1
	v_cvt_f32_f16_e32 v69, v73
	v_max_f32_e32 v85, 0, v60
	v_mul_lo_u32 v60, v31, s34
	v_add_f32_e32 v41, v41, v68
	v_add_f32_e32 v40, v40, v69
	v_max_f32_e32 v40, 0, v40
	v_max_f32_e32 v41, 0, v41
	v_cvt_f16_f32_e32 v73, v75
	v_cvt_f16_f32_e32 v75, v80
	;; [unrolled: 1-line block ×4, first 2 shown]
	v_mad_u64_u32 v[40:41], s[0:1], v34, s35, v[60:61]
	v_cndmask_b32_e32 v56, 0, v88, vcc
	v_cmp_gt_i32_e32 vcc, s15, v34
	v_cmp_gt_i32_e64 s[2:3], s11, v31
	v_bfrev_b32_e32 v31, 1
	s_and_b64 s[0:1], s[2:3], vcc
	v_cndmask_b32_e64 v34, v31, 0, s[0:1]
	v_pack_b32_f16 v68, v73, v75
	v_pack_b32_f16 v69, v80, v69
	v_lshl_add_u32 v34, v40, 1, v34
	buffer_store_dwordx2 v[68:69], v34, s[28:31], 0 offen
	v_cvt_f32_f16_sdwa v34, v63 dst_sel:DWORD dst_unused:UNUSED_PAD src0_sel:WORD_1
	v_cvt_f32_f16_e32 v41, v63
	v_cvt_f16_f32_e32 v60, v74
	v_cvt_f16_f32_e32 v63, v81
	v_add_f32_e32 v34, v39, v34
	v_add_f32_e32 v38, v38, v41
	v_max_f32_e32 v38, 0, v38
	v_max_f32_e32 v34, 0, v34
	v_cvt_f16_f32_e32 v34, v34
	v_cvt_f16_f32_e32 v39, v38
	v_pack_b32_f16 v38, v60, v63
	v_cmp_gt_i32_e64 s[0:1], s15, v52
	v_cvt_f32_f16_sdwa v52, v76 dst_sel:DWORD dst_unused:UNUSED_PAD src0_sel:WORD_1
	v_cvt_f32_f16_e32 v60, v76
	s_lshl_b32 s4, s35, 6
	s_and_b64 s[2:3], s[2:3], s[0:1]
	v_add_u32_e32 v41, s4, v40
	v_pack_b32_f16 v39, v39, v34
	v_cndmask_b32_e64 v34, v31, 0, s[2:3]
	v_lshl_add_u32 v34, v41, 1, v34
	v_add_f32_e32 v33, v33, v52
	v_add_f32_e32 v32, v32, v60
	buffer_store_dwordx2 v[38:39], v34, s[28:31], 0 offen
	v_add_u32_e32 v34, s34, v41
	v_cvt_f32_f16_sdwa v39, v54 dst_sel:DWORD dst_unused:UNUSED_PAD src0_sel:WORD_1
	v_cvt_f32_f16_e32 v41, v54
	v_max_f32_e32 v32, 0, v32
	v_max_f32_e32 v33, 0, v33
	v_cvt_f16_f32_e32 v33, v33
	v_cvt_f16_f32_e32 v52, v32
	;; [unrolled: 1-line block ×4, first 2 shown]
	v_add_f32_e32 v25, v25, v39
	v_add_f32_e32 v24, v24, v41
	v_cmp_gt_i32_e64 s[2:3], s11, v59
	v_max_f32_e32 v24, 0, v24
	v_max_f32_e32 v25, 0, v25
	v_pack_b32_f16 v33, v52, v33
	s_and_b64 s[6:7], s[2:3], s[0:1]
	v_cvt_f16_f32_e32 v52, v62
	v_cvt_f16_f32_e32 v54, v72
	;; [unrolled: 1-line block ×4, first 2 shown]
	v_cndmask_b32_e64 v38, v31, 0, s[6:7]
	v_pack_b32_f16 v32, v63, v68
	v_lshl_add_u32 v38, v34, 1, v38
	s_and_b64 s[2:3], s[2:3], vcc
	buffer_store_dwordx2 v[32:33], v38, s[28:31], 0 offen
	v_add_u32_e32 v32, s34, v40
	v_cndmask_b32_e64 v33, v31, 0, s[2:3]
	v_cmp_gt_i32_e64 s[2:3], s11, v55
	v_pack_b32_f16 v24, v52, v54
	v_pack_b32_f16 v25, v39, v25
	v_lshl_add_u32 v33, v32, 1, v33
	s_and_b64 s[6:7], s[2:3], vcc
	v_cvt_f32_f16_sdwa v38, v67 dst_sel:DWORD dst_unused:UNUSED_PAD src0_sel:WORD_1
	v_cvt_f32_f16_e32 v39, v67
	buffer_store_dwordx2 v[24:25], v33, s[28:31], 0 offen
	v_add_u32_e32 v24, s34, v32
	v_cndmask_b32_e64 v25, v31, 0, s[6:7]
	v_lshl_add_u32 v24, v24, 1, v25
	v_cvt_f32_f16_sdwa v25, v65 dst_sel:DWORD dst_unused:UNUSED_PAD src0_sel:WORD_1
	v_cvt_f32_f16_e32 v32, v65
	v_add_f32_e32 v19, v19, v38
	v_add_f32_e32 v18, v18, v39
	v_max_f32_e32 v18, 0, v18
	v_max_f32_e32 v19, 0, v19
	v_add_f32_e32 v23, v23, v25
	v_add_f32_e32 v22, v22, v32
	v_cvt_f16_f32_e32 v40, v78
	v_cvt_f16_f32_e32 v41, v79
	;; [unrolled: 1-line block ×4, first 2 shown]
	v_max_f32_e32 v22, 0, v22
	v_max_f32_e32 v23, 0, v23
	v_cvt_f16_f32_e32 v23, v23
	v_cvt_f16_f32_e32 v22, v22
	v_pack_b32_f16 v18, v40, v41
	v_pack_b32_f16 v19, v38, v19
	buffer_store_dwordx2 v[18:19], v24, s[28:31], 0 offen
	v_pack_b32_f16 v19, v22, v23
	v_cvt_f32_f16_sdwa v23, v77 dst_sel:DWORD dst_unused:UNUSED_PAD src0_sel:WORD_1
	v_cvt_f32_f16_e32 v25, v77
	v_cvt_f16_f32_e32 v33, v82
	v_cvt_f16_f32_e32 v38, v101
	v_add_f32_e32 v17, v17, v23
	v_add_f32_e32 v16, v16, v25
	v_max_f32_e32 v16, 0, v16
	v_max_f32_e32 v17, 0, v17
	v_cvt_f16_f32_e32 v17, v17
	v_cvt_f16_f32_e32 v23, v16
	s_and_b64 s[2:3], s[2:3], s[0:1]
	v_add_u32_e32 v24, s34, v34
	v_cndmask_b32_e64 v22, v31, 0, s[2:3]
	v_pack_b32_f16 v18, v33, v38
	v_lshl_add_u32 v22, v24, 1, v22
	buffer_store_dwordx2 v[18:19], v22, s[28:31], 0 offen
	v_pack_b32_f16 v17, v23, v17
	v_cvt_f32_f16_sdwa v22, v53 dst_sel:DWORD dst_unused:UNUSED_PAD src0_sel:WORD_1
	v_cvt_f32_f16_e32 v23, v53
	v_cvt_f16_f32_e32 v32, v89
	v_cvt_f16_f32_e32 v33, v102
	v_add_f32_e32 v11, v11, v22
	v_add_f32_e32 v10, v10, v23
	v_cmp_gt_i32_e64 s[2:3], s11, v57
	v_max_f32_e32 v10, 0, v10
	v_max_f32_e32 v11, 0, v11
	v_pack_b32_f16 v16, v32, v33
	s_and_b64 s[6:7], s[2:3], s[0:1]
	v_cvt_f16_f32_e32 v25, v70
	v_cvt_f16_f32_e32 v32, v71
	;; [unrolled: 1-line block ×4, first 2 shown]
	v_add_u32_e32 v18, s34, v24
	v_cndmask_b32_e64 v19, v31, 0, s[6:7]
	v_lshl_add_u32 v19, v18, 1, v19
	s_and_b64 s[2:3], s[2:3], vcc
	buffer_store_dwordx2 v[16:17], v19, s[28:31], 0 offen
	v_subrev_u32_e32 v16, s4, v18
	v_cndmask_b32_e64 v17, v31, 0, s[2:3]
	v_pack_b32_f16 v10, v25, v32
	v_pack_b32_f16 v11, v22, v11
	v_lshl_add_u32 v17, v16, 1, v17
	buffer_store_dwordx2 v[10:11], v17, s[28:31], 0 offen
	v_cvt_f32_f16_sdwa v10, v84 dst_sel:DWORD dst_unused:UNUSED_PAD src0_sel:WORD_1
	v_cvt_f32_f16_e32 v11, v84
	v_cmp_gt_i32_e64 s[2:3], s11, v58
	s_lshl_b32 s5, s34, 6
	v_add_f32_e32 v10, v15, v10
	v_add_f32_e32 v11, v14, v11
	v_max_f32_e32 v11, 0, v11
	v_max_f32_e32 v10, 0, v10
	v_cvt_f16_f32_e32 v14, v10
	v_cvt_f16_f32_e32 v11, v11
	s_and_b64 s[6:7], s[2:3], vcc
	v_add_u32_e32 v15, s5, v16
	v_cvt_f32_f16_e32 v16, v56
	v_pack_b32_f16 v11, v11, v14
	v_cndmask_b32_e64 v14, v31, 0, s[6:7]
	v_lshl_add_u32 v14, v15, 1, v14
	v_cvt_f32_f16_sdwa v15, v56 dst_sel:DWORD dst_unused:UNUSED_PAD src0_sel:WORD_1
	v_add_f32_e32 v16, v20, v16
	v_cvt_f16_f32_e32 v17, v83
	v_cvt_f16_f32_e32 v19, v86
	v_add_f32_e32 v15, v21, v15
	v_max_f32_e32 v16, 0, v16
	v_max_f32_e32 v15, 0, v15
	v_cvt_f16_f32_e32 v15, v15
	v_cvt_f16_f32_e32 v16, v16
	v_pack_b32_f16 v10, v17, v19
	s_and_b64 s[2:3], s[2:3], s[0:1]
	buffer_store_dwordx2 v[10:11], v14, s[28:31], 0 offen
	v_add_u32_e32 v14, s5, v18
	v_pack_b32_f16 v11, v16, v15
	v_cndmask_b32_e64 v15, v31, 0, s[2:3]
	v_lshl_add_u32 v14, v14, 1, v15
	v_cvt_f32_f16_sdwa v15, v61 dst_sel:DWORD dst_unused:UNUSED_PAD src0_sel:WORD_1
	v_cvt_f32_f16_e32 v16, v61
	v_cvt_f16_f32_e32 v17, v87
	v_cvt_f16_f32_e32 v19, v85
	v_add_f32_e32 v13, v13, v15
	v_add_f32_e32 v12, v12, v16
	v_max_f32_e32 v12, 0, v12
	v_max_f32_e32 v13, 0, v13
	v_cvt_f16_f32_e32 v13, v13
	v_cvt_f16_f32_e32 v12, v12
	v_pack_b32_f16 v10, v17, v19
	buffer_store_dwordx2 v[10:11], v14, s[28:31], 0 offen
	v_cvt_f32_f16_e32 v15, v49
	v_pack_b32_f16 v11, v12, v13
	v_cvt_f32_f16_sdwa v13, v49 dst_sel:DWORD dst_unused:UNUSED_PAD src0_sel:WORD_1
	v_max_f32_e32 v64, 0, v64
	v_max_f32_e32 v66, 0, v66
	v_cvt_f16_f32_e32 v17, v64
	v_cvt_f16_f32_e32 v18, v66
	v_add_f32_e32 v50, v50, v90
	v_add_f32_e32 v9, v9, v13
	v_add_f32_e32 v8, v8, v15
	v_max_f32_e32 v50, 0, v50
	v_max_f32_e32 v51, 0, v51
	v_cmp_ge_i32_e64 s[2:3], s11, v58
	v_max_f32_e32 v8, 0, v8
	v_max_f32_e32 v9, 0, v9
	v_pack_b32_f16 v10, v17, v18
	s_and_b64 s[2:3], s[2:3], s[0:1]
	v_cvt_f16_f32_e32 v16, v50
	v_cvt_f16_f32_e32 v17, v51
	;; [unrolled: 1-line block ×4, first 2 shown]
	v_add_u32_e32 v14, s5, v24
	v_cndmask_b32_e64 v12, v31, 0, s[2:3]
	v_cmp_gt_i32_e64 s[2:3], s11, v46
	v_lshl_add_u32 v12, v14, 1, v12
	s_and_b64 s[2:3], s[2:3], vcc
	buffer_store_dwordx2 v[10:11], v12, s[28:31], 0 offen
	v_subrev_u32_e32 v10, s4, v14
	v_cndmask_b32_e64 v11, v31, 0, s[2:3]
	v_pack_b32_f16 v8, v16, v17
	v_pack_b32_f16 v9, v13, v9
	v_lshl_add_u32 v11, v10, 1, v11
	v_cvt_f32_f16_sdwa v12, v45 dst_sel:DWORD dst_unused:UNUSED_PAD src0_sel:WORD_1
	v_cvt_f32_f16_e32 v13, v45
	buffer_store_dwordx2 v[8:9], v11, s[28:31], 0 offen
	v_subrev_u32_e32 v8, s34, v10
	v_cvt_f32_f16_sdwa v10, v42 dst_sel:DWORD dst_unused:UNUSED_PAD src0_sel:WORD_1
	v_cvt_f32_f16_e32 v11, v42
	v_add_f32_e32 v5, v5, v12
	v_add_f32_e32 v4, v4, v13
	v_max_f32_e32 v4, 0, v4
	v_max_f32_e32 v5, 0, v5
	v_add_f32_e32 v7, v7, v10
	v_add_f32_e32 v6, v6, v11
	v_cvt_f16_f32_e32 v14, v47
	v_cvt_f16_f32_e32 v15, v48
	;; [unrolled: 1-line block ×4, first 2 shown]
	v_max_f32_e32 v6, 0, v6
	v_max_f32_e32 v7, 0, v7
	v_cmp_ge_i32_e64 s[2:3], s11, v46
	v_cvt_f16_f32_e32 v7, v7
	v_cvt_f16_f32_e32 v6, v6
	s_and_b64 s[2:3], s[2:3], vcc
	v_cndmask_b32_e64 v9, v31, 0, s[2:3]
	v_pack_b32_f16 v4, v14, v15
	v_pack_b32_f16 v5, v12, v5
	v_lshl_add_u32 v9, v8, 1, v9
	buffer_store_dwordx2 v[4:5], v9, s[28:31], 0 offen
	v_pack_b32_f16 v5, v6, v7
	v_cvt_f32_f16_sdwa v7, v35 dst_sel:DWORD dst_unused:UNUSED_PAD src0_sel:WORD_1
	v_cvt_f32_f16_e32 v9, v35
	v_cvt_f16_f32_e32 v12, v43
	v_cvt_f16_f32_e32 v13, v44
	v_add_f32_e32 v3, v3, v7
	v_add_f32_e32 v2, v2, v9
	v_max_f32_e32 v2, 0, v2
	v_max_f32_e32 v3, 0, v3
	v_cmp_gt_i32_e64 s[2:3], s11, v30
	v_cvt_f16_f32_e32 v3, v3
	v_cvt_f16_f32_e32 v7, v2
	s_and_b64 s[2:3], s[2:3], s[0:1]
	v_add_u32_e32 v8, s4, v8
	v_cndmask_b32_e64 v6, v31, 0, s[2:3]
	v_pack_b32_f16 v4, v12, v13
	v_lshl_add_u32 v6, v8, 1, v6
	buffer_store_dwordx2 v[4:5], v6, s[28:31], 0 offen
	v_pack_b32_f16 v3, v7, v3
	v_cvt_f32_f16_sdwa v6, v27 dst_sel:DWORD dst_unused:UNUSED_PAD src0_sel:WORD_1
	v_cvt_f32_f16_e32 v7, v27
	v_cvt_f16_f32_e32 v10, v36
	v_cvt_f16_f32_e32 v11, v37
	v_add_f32_e32 v1, v1, v6
	v_add_f32_e32 v0, v0, v7
	v_cmp_ge_i32_e64 s[2:3], s11, v30
	v_max_f32_e32 v0, 0, v0
	v_max_f32_e32 v1, 0, v1
	v_subrev_u32_e32 v4, s34, v8
	s_and_b64 s[0:1], s[2:3], s[0:1]
	v_cvt_f16_f32_e32 v8, v28
	v_cvt_f16_f32_e32 v9, v29
	;; [unrolled: 1-line block ×4, first 2 shown]
	v_cndmask_b32_e64 v5, v31, 0, s[0:1]
	v_cmp_gt_i32_e64 s[0:1], s11, v26
	v_pack_b32_f16 v2, v10, v11
	v_lshl_add_u32 v5, v4, 1, v5
	s_and_b64 s[0:1], s[0:1], vcc
	buffer_store_dwordx2 v[2:3], v5, s[28:31], 0 offen
	v_subrev_u32_e32 v2, s4, v4
	v_cndmask_b32_e64 v3, v31, 0, s[0:1]
	v_pack_b32_f16 v0, v8, v9
	v_pack_b32_f16 v1, v6, v1
	v_lshl_add_u32 v2, v2, 1, v3
	buffer_store_dwordx2 v[0:1], v2, s[28:31], 0 offen
	s_endpgm
	.section	.rodata,"a",@progbits
	.p2align	6, 0x0
	.amdhsa_kernel _ZN2ck16tensor_operation6device12_GLOBAL__N_137kernel_grouped_conv_fwd_dl_multiple_dINS_32GridwiseGemmDlMultipleD_km_kn_mnILi256EDF16_fNS_5TupleIJDF16_EEEDF16_NS0_12element_wise11PassThroughES8_NS7_7AddReluELNS_25InMemoryDataOperationEnumE0ENS_16TensorDescriptorINS5_IJNS_5EmbedINS5_IJiiiiiEEESD_Lb0EEENS_11PassThroughIiEENS_3PadIiiiLb0EEESI_SI_SG_SG_NSC_INS5_IJiiEEESJ_Lb0EEESK_SK_SG_NS_23Merge_v2_magic_divisionINS5_IJiiiiEEEEESN_NS_8RightPadIiiLb0EEESP_NS_7UnMergeISJ_Lb0EEESG_EEENS5_IJNS_8SequenceIJLi0EEEENST_IJLi1EEEENST_IJLi2EEEENST_IJLi3EEEENST_IJLi4EEEENST_IJLi5EEEENST_IJLi6EEEENST_IJLi7EEEENST_IJLi8EEEENST_IJLi9EEEENST_IJLi10EEEENST_IJLi11ELi13ELi15ELi17EEEENST_IJLi12ELi14ELi16ELi18EEEENST_IJLi19EEEENST_IJLi20EEEENST_IJLi22EEEENST_IJLi21EEEEEEENS5_IJNST_IJLi1ELi2ELi3ELi4ELi5EEEES10_S11_S12_S13_S14_NST_IJLi11EEEENST_IJLi12ELi13EEEENST_IJLi14ELi15EEEENST_IJLi16ELi17EEEENST_IJLi18EEEES17_S18_S1A_S19_NST_IJLi23ELi24EEEENST_IJLi25EEEEEEENST_IJLi23ELi25ELi24EEEElEENSB_INS5_IJSR_SP_SP_SR_SG_EEENS5_IJSU_SV_SW_SY_SX_EEENS5_IJNST_IJLi1ELi2EEEESX_SY_NST_IJLi5ELi6EEEES11_EEENST_IJLi5ELi7ELi6EEEElEENSB_INS5_IJSK_SP_SP_EEENS5_IJSU_SV_SW_EEENS5_IJS1P_SX_SY_EEENST_IJLi3ELi4EEEElEELi128ELi128ELi16ELi2ELi4ELi4ELi1ENST_IJLi8ELi2EEEES1Z_NST_IJLi8ELi1ELi1ELi2EEEENST_IJLi2ELi1ELi128ELi1EEEENST_IJLi1ELi2ELi0ELi3EEEES22_NST_IJLi4ELi1ELi1ELi2EEEES22_NST_IJLi1ELi1ELi1ELi2EEEES20_S21_S22_S22_S23_S22_S24_NST_IJLi0ELi1ELi2ELi3ELi4ELi5EEEELi5ELi4EEEDF16_NS5_IJPKDF16_EEEDF16_S8_S8_S9_NSB_INS5_IJSE_SG_SI_SI_SI_SG_SG_SK_SK_SK_SG_SN_SN_SP_SP_SR_SG_SG_NSQ_INS5_IJiNS_17integral_constantIiLi128EEEEEELb0EEENSF_INS2A_IiLi2EEEEEEEENS5_IJSU_SV_SW_SX_SY_SZ_S10_S11_S12_S13_S14_S15_S16_S17_S18_S19_S1A_NST_IJLi23EEEES1J_NST_IJLi24EEEEEEENS5_IJS1C_S10_S11_S12_S13_S14_S1D_S1E_S1F_S1G_S1H_S17_S18_S1A_S19_S1I_S1J_NST_IJLi26EEEENST_IJLi27ELi28EEEENST_IJLi29EEEEEEENST_IJLi26ELi27ELi28ELi29EEEElEENSB_INS5_IJSR_SP_SP_SR_SG_SG_S2D_S2F_EEENS5_IJSU_SV_SW_SY_SX_SZ_S11_S10_EEENS5_IJS1P_SX_SY_S1Q_S11_S12_NST_IJLi9ELi10EEEES1D_EEENST_IJLi8ELi9ELi10ELi11EEEElEENS5_IJNSB_INS5_IJSK_SP_SP_NSQ_INS5_IJiS2E_NS2A_IiLi64EEEEEELb0EEES2Y_EEENS5_IJSU_SV_SW_SX_SY_EEENS5_IJS1P_SX_SY_NST_IJLi5ELi6ELi7EEEENST_IJLi8ELi9ELi10EEEEEEENST_IJLi5ELi6ELi7ELi8ELi9ELi10EEEElEEEEES35_NS_31BlockToCTileMap_M00_N00_M01_N01ILi128ELi128ES1Y_Lb0EEENS1_30ComputePtrOffsetOfStridedBatchILi1ELi1ELi1EvEELb1ELb1EEEvPKT0_S3D_T1_PT2_T3_T4_T5_iT6_T7_T8_T9_T10_T11_
		.amdhsa_group_segment_fixed_size 32768
		.amdhsa_private_segment_fixed_size 164
		.amdhsa_kernarg_size 1024
		.amdhsa_user_sgpr_count 6
		.amdhsa_user_sgpr_private_segment_buffer 1
		.amdhsa_user_sgpr_dispatch_ptr 0
		.amdhsa_user_sgpr_queue_ptr 0
		.amdhsa_user_sgpr_kernarg_segment_ptr 1
		.amdhsa_user_sgpr_dispatch_id 0
		.amdhsa_user_sgpr_flat_scratch_init 0
		.amdhsa_user_sgpr_private_segment_size 0
		.amdhsa_uses_dynamic_stack 0
		.amdhsa_system_sgpr_private_segment_wavefront_offset 1
		.amdhsa_system_sgpr_workgroup_id_x 1
		.amdhsa_system_sgpr_workgroup_id_y 0
		.amdhsa_system_sgpr_workgroup_id_z 0
		.amdhsa_system_sgpr_workgroup_info 0
		.amdhsa_system_vgpr_workitem_id 0
		.amdhsa_next_free_vgpr 128
		.amdhsa_next_free_sgpr 98
		.amdhsa_reserve_vcc 1
		.amdhsa_reserve_flat_scratch 0
		.amdhsa_float_round_mode_32 0
		.amdhsa_float_round_mode_16_64 0
		.amdhsa_float_denorm_mode_32 3
		.amdhsa_float_denorm_mode_16_64 3
		.amdhsa_dx10_clamp 1
		.amdhsa_ieee_mode 1
		.amdhsa_fp16_overflow 0
		.amdhsa_exception_fp_ieee_invalid_op 0
		.amdhsa_exception_fp_denorm_src 0
		.amdhsa_exception_fp_ieee_div_zero 0
		.amdhsa_exception_fp_ieee_overflow 0
		.amdhsa_exception_fp_ieee_underflow 0
		.amdhsa_exception_fp_ieee_inexact 0
		.amdhsa_exception_int_div_zero 0
	.end_amdhsa_kernel
	.section	.text._ZN2ck16tensor_operation6device12_GLOBAL__N_137kernel_grouped_conv_fwd_dl_multiple_dINS_32GridwiseGemmDlMultipleD_km_kn_mnILi256EDF16_fNS_5TupleIJDF16_EEEDF16_NS0_12element_wise11PassThroughES8_NS7_7AddReluELNS_25InMemoryDataOperationEnumE0ENS_16TensorDescriptorINS5_IJNS_5EmbedINS5_IJiiiiiEEESD_Lb0EEENS_11PassThroughIiEENS_3PadIiiiLb0EEESI_SI_SG_SG_NSC_INS5_IJiiEEESJ_Lb0EEESK_SK_SG_NS_23Merge_v2_magic_divisionINS5_IJiiiiEEEEESN_NS_8RightPadIiiLb0EEESP_NS_7UnMergeISJ_Lb0EEESG_EEENS5_IJNS_8SequenceIJLi0EEEENST_IJLi1EEEENST_IJLi2EEEENST_IJLi3EEEENST_IJLi4EEEENST_IJLi5EEEENST_IJLi6EEEENST_IJLi7EEEENST_IJLi8EEEENST_IJLi9EEEENST_IJLi10EEEENST_IJLi11ELi13ELi15ELi17EEEENST_IJLi12ELi14ELi16ELi18EEEENST_IJLi19EEEENST_IJLi20EEEENST_IJLi22EEEENST_IJLi21EEEEEEENS5_IJNST_IJLi1ELi2ELi3ELi4ELi5EEEES10_S11_S12_S13_S14_NST_IJLi11EEEENST_IJLi12ELi13EEEENST_IJLi14ELi15EEEENST_IJLi16ELi17EEEENST_IJLi18EEEES17_S18_S1A_S19_NST_IJLi23ELi24EEEENST_IJLi25EEEEEEENST_IJLi23ELi25ELi24EEEElEENSB_INS5_IJSR_SP_SP_SR_SG_EEENS5_IJSU_SV_SW_SY_SX_EEENS5_IJNST_IJLi1ELi2EEEESX_SY_NST_IJLi5ELi6EEEES11_EEENST_IJLi5ELi7ELi6EEEElEENSB_INS5_IJSK_SP_SP_EEENS5_IJSU_SV_SW_EEENS5_IJS1P_SX_SY_EEENST_IJLi3ELi4EEEElEELi128ELi128ELi16ELi2ELi4ELi4ELi1ENST_IJLi8ELi2EEEES1Z_NST_IJLi8ELi1ELi1ELi2EEEENST_IJLi2ELi1ELi128ELi1EEEENST_IJLi1ELi2ELi0ELi3EEEES22_NST_IJLi4ELi1ELi1ELi2EEEES22_NST_IJLi1ELi1ELi1ELi2EEEES20_S21_S22_S22_S23_S22_S24_NST_IJLi0ELi1ELi2ELi3ELi4ELi5EEEELi5ELi4EEEDF16_NS5_IJPKDF16_EEEDF16_S8_S8_S9_NSB_INS5_IJSE_SG_SI_SI_SI_SG_SG_SK_SK_SK_SG_SN_SN_SP_SP_SR_SG_SG_NSQ_INS5_IJiNS_17integral_constantIiLi128EEEEEELb0EEENSF_INS2A_IiLi2EEEEEEEENS5_IJSU_SV_SW_SX_SY_SZ_S10_S11_S12_S13_S14_S15_S16_S17_S18_S19_S1A_NST_IJLi23EEEES1J_NST_IJLi24EEEEEEENS5_IJS1C_S10_S11_S12_S13_S14_S1D_S1E_S1F_S1G_S1H_S17_S18_S1A_S19_S1I_S1J_NST_IJLi26EEEENST_IJLi27ELi28EEEENST_IJLi29EEEEEEENST_IJLi26ELi27ELi28ELi29EEEElEENSB_INS5_IJSR_SP_SP_SR_SG_SG_S2D_S2F_EEENS5_IJSU_SV_SW_SY_SX_SZ_S11_S10_EEENS5_IJS1P_SX_SY_S1Q_S11_S12_NST_IJLi9ELi10EEEES1D_EEENST_IJLi8ELi9ELi10ELi11EEEElEENS5_IJNSB_INS5_IJSK_SP_SP_NSQ_INS5_IJiS2E_NS2A_IiLi64EEEEEELb0EEES2Y_EEENS5_IJSU_SV_SW_SX_SY_EEENS5_IJS1P_SX_SY_NST_IJLi5ELi6ELi7EEEENST_IJLi8ELi9ELi10EEEEEEENST_IJLi5ELi6ELi7ELi8ELi9ELi10EEEElEEEEES35_NS_31BlockToCTileMap_M00_N00_M01_N01ILi128ELi128ES1Y_Lb0EEENS1_30ComputePtrOffsetOfStridedBatchILi1ELi1ELi1EvEELb1ELb1EEEvPKT0_S3D_T1_PT2_T3_T4_T5_iT6_T7_T8_T9_T10_T11_,"axG",@progbits,_ZN2ck16tensor_operation6device12_GLOBAL__N_137kernel_grouped_conv_fwd_dl_multiple_dINS_32GridwiseGemmDlMultipleD_km_kn_mnILi256EDF16_fNS_5TupleIJDF16_EEEDF16_NS0_12element_wise11PassThroughES8_NS7_7AddReluELNS_25InMemoryDataOperationEnumE0ENS_16TensorDescriptorINS5_IJNS_5EmbedINS5_IJiiiiiEEESD_Lb0EEENS_11PassThroughIiEENS_3PadIiiiLb0EEESI_SI_SG_SG_NSC_INS5_IJiiEEESJ_Lb0EEESK_SK_SG_NS_23Merge_v2_magic_divisionINS5_IJiiiiEEEEESN_NS_8RightPadIiiLb0EEESP_NS_7UnMergeISJ_Lb0EEESG_EEENS5_IJNS_8SequenceIJLi0EEEENST_IJLi1EEEENST_IJLi2EEEENST_IJLi3EEEENST_IJLi4EEEENST_IJLi5EEEENST_IJLi6EEEENST_IJLi7EEEENST_IJLi8EEEENST_IJLi9EEEENST_IJLi10EEEENST_IJLi11ELi13ELi15ELi17EEEENST_IJLi12ELi14ELi16ELi18EEEENST_IJLi19EEEENST_IJLi20EEEENST_IJLi22EEEENST_IJLi21EEEEEEENS5_IJNST_IJLi1ELi2ELi3ELi4ELi5EEEES10_S11_S12_S13_S14_NST_IJLi11EEEENST_IJLi12ELi13EEEENST_IJLi14ELi15EEEENST_IJLi16ELi17EEEENST_IJLi18EEEES17_S18_S1A_S19_NST_IJLi23ELi24EEEENST_IJLi25EEEEEEENST_IJLi23ELi25ELi24EEEElEENSB_INS5_IJSR_SP_SP_SR_SG_EEENS5_IJSU_SV_SW_SY_SX_EEENS5_IJNST_IJLi1ELi2EEEESX_SY_NST_IJLi5ELi6EEEES11_EEENST_IJLi5ELi7ELi6EEEElEENSB_INS5_IJSK_SP_SP_EEENS5_IJSU_SV_SW_EEENS5_IJS1P_SX_SY_EEENST_IJLi3ELi4EEEElEELi128ELi128ELi16ELi2ELi4ELi4ELi1ENST_IJLi8ELi2EEEES1Z_NST_IJLi8ELi1ELi1ELi2EEEENST_IJLi2ELi1ELi128ELi1EEEENST_IJLi1ELi2ELi0ELi3EEEES22_NST_IJLi4ELi1ELi1ELi2EEEES22_NST_IJLi1ELi1ELi1ELi2EEEES20_S21_S22_S22_S23_S22_S24_NST_IJLi0ELi1ELi2ELi3ELi4ELi5EEEELi5ELi4EEEDF16_NS5_IJPKDF16_EEEDF16_S8_S8_S9_NSB_INS5_IJSE_SG_SI_SI_SI_SG_SG_SK_SK_SK_SG_SN_SN_SP_SP_SR_SG_SG_NSQ_INS5_IJiNS_17integral_constantIiLi128EEEEEELb0EEENSF_INS2A_IiLi2EEEEEEEENS5_IJSU_SV_SW_SX_SY_SZ_S10_S11_S12_S13_S14_S15_S16_S17_S18_S19_S1A_NST_IJLi23EEEES1J_NST_IJLi24EEEEEEENS5_IJS1C_S10_S11_S12_S13_S14_S1D_S1E_S1F_S1G_S1H_S17_S18_S1A_S19_S1I_S1J_NST_IJLi26EEEENST_IJLi27ELi28EEEENST_IJLi29EEEEEEENST_IJLi26ELi27ELi28ELi29EEEElEENSB_INS5_IJSR_SP_SP_SR_SG_SG_S2D_S2F_EEENS5_IJSU_SV_SW_SY_SX_SZ_S11_S10_EEENS5_IJS1P_SX_SY_S1Q_S11_S12_NST_IJLi9ELi10EEEES1D_EEENST_IJLi8ELi9ELi10ELi11EEEElEENS5_IJNSB_INS5_IJSK_SP_SP_NSQ_INS5_IJiS2E_NS2A_IiLi64EEEEEELb0EEES2Y_EEENS5_IJSU_SV_SW_SX_SY_EEENS5_IJS1P_SX_SY_NST_IJLi5ELi6ELi7EEEENST_IJLi8ELi9ELi10EEEEEEENST_IJLi5ELi6ELi7ELi8ELi9ELi10EEEElEEEEES35_NS_31BlockToCTileMap_M00_N00_M01_N01ILi128ELi128ES1Y_Lb0EEENS1_30ComputePtrOffsetOfStridedBatchILi1ELi1ELi1EvEELb1ELb1EEEvPKT0_S3D_T1_PT2_T3_T4_T5_iT6_T7_T8_T9_T10_T11_,comdat
.Lfunc_end9:
	.size	_ZN2ck16tensor_operation6device12_GLOBAL__N_137kernel_grouped_conv_fwd_dl_multiple_dINS_32GridwiseGemmDlMultipleD_km_kn_mnILi256EDF16_fNS_5TupleIJDF16_EEEDF16_NS0_12element_wise11PassThroughES8_NS7_7AddReluELNS_25InMemoryDataOperationEnumE0ENS_16TensorDescriptorINS5_IJNS_5EmbedINS5_IJiiiiiEEESD_Lb0EEENS_11PassThroughIiEENS_3PadIiiiLb0EEESI_SI_SG_SG_NSC_INS5_IJiiEEESJ_Lb0EEESK_SK_SG_NS_23Merge_v2_magic_divisionINS5_IJiiiiEEEEESN_NS_8RightPadIiiLb0EEESP_NS_7UnMergeISJ_Lb0EEESG_EEENS5_IJNS_8SequenceIJLi0EEEENST_IJLi1EEEENST_IJLi2EEEENST_IJLi3EEEENST_IJLi4EEEENST_IJLi5EEEENST_IJLi6EEEENST_IJLi7EEEENST_IJLi8EEEENST_IJLi9EEEENST_IJLi10EEEENST_IJLi11ELi13ELi15ELi17EEEENST_IJLi12ELi14ELi16ELi18EEEENST_IJLi19EEEENST_IJLi20EEEENST_IJLi22EEEENST_IJLi21EEEEEEENS5_IJNST_IJLi1ELi2ELi3ELi4ELi5EEEES10_S11_S12_S13_S14_NST_IJLi11EEEENST_IJLi12ELi13EEEENST_IJLi14ELi15EEEENST_IJLi16ELi17EEEENST_IJLi18EEEES17_S18_S1A_S19_NST_IJLi23ELi24EEEENST_IJLi25EEEEEEENST_IJLi23ELi25ELi24EEEElEENSB_INS5_IJSR_SP_SP_SR_SG_EEENS5_IJSU_SV_SW_SY_SX_EEENS5_IJNST_IJLi1ELi2EEEESX_SY_NST_IJLi5ELi6EEEES11_EEENST_IJLi5ELi7ELi6EEEElEENSB_INS5_IJSK_SP_SP_EEENS5_IJSU_SV_SW_EEENS5_IJS1P_SX_SY_EEENST_IJLi3ELi4EEEElEELi128ELi128ELi16ELi2ELi4ELi4ELi1ENST_IJLi8ELi2EEEES1Z_NST_IJLi8ELi1ELi1ELi2EEEENST_IJLi2ELi1ELi128ELi1EEEENST_IJLi1ELi2ELi0ELi3EEEES22_NST_IJLi4ELi1ELi1ELi2EEEES22_NST_IJLi1ELi1ELi1ELi2EEEES20_S21_S22_S22_S23_S22_S24_NST_IJLi0ELi1ELi2ELi3ELi4ELi5EEEELi5ELi4EEEDF16_NS5_IJPKDF16_EEEDF16_S8_S8_S9_NSB_INS5_IJSE_SG_SI_SI_SI_SG_SG_SK_SK_SK_SG_SN_SN_SP_SP_SR_SG_SG_NSQ_INS5_IJiNS_17integral_constantIiLi128EEEEEELb0EEENSF_INS2A_IiLi2EEEEEEEENS5_IJSU_SV_SW_SX_SY_SZ_S10_S11_S12_S13_S14_S15_S16_S17_S18_S19_S1A_NST_IJLi23EEEES1J_NST_IJLi24EEEEEEENS5_IJS1C_S10_S11_S12_S13_S14_S1D_S1E_S1F_S1G_S1H_S17_S18_S1A_S19_S1I_S1J_NST_IJLi26EEEENST_IJLi27ELi28EEEENST_IJLi29EEEEEEENST_IJLi26ELi27ELi28ELi29EEEElEENSB_INS5_IJSR_SP_SP_SR_SG_SG_S2D_S2F_EEENS5_IJSU_SV_SW_SY_SX_SZ_S11_S10_EEENS5_IJS1P_SX_SY_S1Q_S11_S12_NST_IJLi9ELi10EEEES1D_EEENST_IJLi8ELi9ELi10ELi11EEEElEENS5_IJNSB_INS5_IJSK_SP_SP_NSQ_INS5_IJiS2E_NS2A_IiLi64EEEEEELb0EEES2Y_EEENS5_IJSU_SV_SW_SX_SY_EEENS5_IJS1P_SX_SY_NST_IJLi5ELi6ELi7EEEENST_IJLi8ELi9ELi10EEEEEEENST_IJLi5ELi6ELi7ELi8ELi9ELi10EEEElEEEEES35_NS_31BlockToCTileMap_M00_N00_M01_N01ILi128ELi128ES1Y_Lb0EEENS1_30ComputePtrOffsetOfStridedBatchILi1ELi1ELi1EvEELb1ELb1EEEvPKT0_S3D_T1_PT2_T3_T4_T5_iT6_T7_T8_T9_T10_T11_, .Lfunc_end9-_ZN2ck16tensor_operation6device12_GLOBAL__N_137kernel_grouped_conv_fwd_dl_multiple_dINS_32GridwiseGemmDlMultipleD_km_kn_mnILi256EDF16_fNS_5TupleIJDF16_EEEDF16_NS0_12element_wise11PassThroughES8_NS7_7AddReluELNS_25InMemoryDataOperationEnumE0ENS_16TensorDescriptorINS5_IJNS_5EmbedINS5_IJiiiiiEEESD_Lb0EEENS_11PassThroughIiEENS_3PadIiiiLb0EEESI_SI_SG_SG_NSC_INS5_IJiiEEESJ_Lb0EEESK_SK_SG_NS_23Merge_v2_magic_divisionINS5_IJiiiiEEEEESN_NS_8RightPadIiiLb0EEESP_NS_7UnMergeISJ_Lb0EEESG_EEENS5_IJNS_8SequenceIJLi0EEEENST_IJLi1EEEENST_IJLi2EEEENST_IJLi3EEEENST_IJLi4EEEENST_IJLi5EEEENST_IJLi6EEEENST_IJLi7EEEENST_IJLi8EEEENST_IJLi9EEEENST_IJLi10EEEENST_IJLi11ELi13ELi15ELi17EEEENST_IJLi12ELi14ELi16ELi18EEEENST_IJLi19EEEENST_IJLi20EEEENST_IJLi22EEEENST_IJLi21EEEEEEENS5_IJNST_IJLi1ELi2ELi3ELi4ELi5EEEES10_S11_S12_S13_S14_NST_IJLi11EEEENST_IJLi12ELi13EEEENST_IJLi14ELi15EEEENST_IJLi16ELi17EEEENST_IJLi18EEEES17_S18_S1A_S19_NST_IJLi23ELi24EEEENST_IJLi25EEEEEEENST_IJLi23ELi25ELi24EEEElEENSB_INS5_IJSR_SP_SP_SR_SG_EEENS5_IJSU_SV_SW_SY_SX_EEENS5_IJNST_IJLi1ELi2EEEESX_SY_NST_IJLi5ELi6EEEES11_EEENST_IJLi5ELi7ELi6EEEElEENSB_INS5_IJSK_SP_SP_EEENS5_IJSU_SV_SW_EEENS5_IJS1P_SX_SY_EEENST_IJLi3ELi4EEEElEELi128ELi128ELi16ELi2ELi4ELi4ELi1ENST_IJLi8ELi2EEEES1Z_NST_IJLi8ELi1ELi1ELi2EEEENST_IJLi2ELi1ELi128ELi1EEEENST_IJLi1ELi2ELi0ELi3EEEES22_NST_IJLi4ELi1ELi1ELi2EEEES22_NST_IJLi1ELi1ELi1ELi2EEEES20_S21_S22_S22_S23_S22_S24_NST_IJLi0ELi1ELi2ELi3ELi4ELi5EEEELi5ELi4EEEDF16_NS5_IJPKDF16_EEEDF16_S8_S8_S9_NSB_INS5_IJSE_SG_SI_SI_SI_SG_SG_SK_SK_SK_SG_SN_SN_SP_SP_SR_SG_SG_NSQ_INS5_IJiNS_17integral_constantIiLi128EEEEEELb0EEENSF_INS2A_IiLi2EEEEEEEENS5_IJSU_SV_SW_SX_SY_SZ_S10_S11_S12_S13_S14_S15_S16_S17_S18_S19_S1A_NST_IJLi23EEEES1J_NST_IJLi24EEEEEEENS5_IJS1C_S10_S11_S12_S13_S14_S1D_S1E_S1F_S1G_S1H_S17_S18_S1A_S19_S1I_S1J_NST_IJLi26EEEENST_IJLi27ELi28EEEENST_IJLi29EEEEEEENST_IJLi26ELi27ELi28ELi29EEEElEENSB_INS5_IJSR_SP_SP_SR_SG_SG_S2D_S2F_EEENS5_IJSU_SV_SW_SY_SX_SZ_S11_S10_EEENS5_IJS1P_SX_SY_S1Q_S11_S12_NST_IJLi9ELi10EEEES1D_EEENST_IJLi8ELi9ELi10ELi11EEEElEENS5_IJNSB_INS5_IJSK_SP_SP_NSQ_INS5_IJiS2E_NS2A_IiLi64EEEEEELb0EEES2Y_EEENS5_IJSU_SV_SW_SX_SY_EEENS5_IJS1P_SX_SY_NST_IJLi5ELi6ELi7EEEENST_IJLi8ELi9ELi10EEEEEEENST_IJLi5ELi6ELi7ELi8ELi9ELi10EEEElEEEEES35_NS_31BlockToCTileMap_M00_N00_M01_N01ILi128ELi128ES1Y_Lb0EEENS1_30ComputePtrOffsetOfStridedBatchILi1ELi1ELi1EvEELb1ELb1EEEvPKT0_S3D_T1_PT2_T3_T4_T5_iT6_T7_T8_T9_T10_T11_
                                        ; -- End function
	.set _ZN2ck16tensor_operation6device12_GLOBAL__N_137kernel_grouped_conv_fwd_dl_multiple_dINS_32GridwiseGemmDlMultipleD_km_kn_mnILi256EDF16_fNS_5TupleIJDF16_EEEDF16_NS0_12element_wise11PassThroughES8_NS7_7AddReluELNS_25InMemoryDataOperationEnumE0ENS_16TensorDescriptorINS5_IJNS_5EmbedINS5_IJiiiiiEEESD_Lb0EEENS_11PassThroughIiEENS_3PadIiiiLb0EEESI_SI_SG_SG_NSC_INS5_IJiiEEESJ_Lb0EEESK_SK_SG_NS_23Merge_v2_magic_divisionINS5_IJiiiiEEEEESN_NS_8RightPadIiiLb0EEESP_NS_7UnMergeISJ_Lb0EEESG_EEENS5_IJNS_8SequenceIJLi0EEEENST_IJLi1EEEENST_IJLi2EEEENST_IJLi3EEEENST_IJLi4EEEENST_IJLi5EEEENST_IJLi6EEEENST_IJLi7EEEENST_IJLi8EEEENST_IJLi9EEEENST_IJLi10EEEENST_IJLi11ELi13ELi15ELi17EEEENST_IJLi12ELi14ELi16ELi18EEEENST_IJLi19EEEENST_IJLi20EEEENST_IJLi22EEEENST_IJLi21EEEEEEENS5_IJNST_IJLi1ELi2ELi3ELi4ELi5EEEES10_S11_S12_S13_S14_NST_IJLi11EEEENST_IJLi12ELi13EEEENST_IJLi14ELi15EEEENST_IJLi16ELi17EEEENST_IJLi18EEEES17_S18_S1A_S19_NST_IJLi23ELi24EEEENST_IJLi25EEEEEEENST_IJLi23ELi25ELi24EEEElEENSB_INS5_IJSR_SP_SP_SR_SG_EEENS5_IJSU_SV_SW_SY_SX_EEENS5_IJNST_IJLi1ELi2EEEESX_SY_NST_IJLi5ELi6EEEES11_EEENST_IJLi5ELi7ELi6EEEElEENSB_INS5_IJSK_SP_SP_EEENS5_IJSU_SV_SW_EEENS5_IJS1P_SX_SY_EEENST_IJLi3ELi4EEEElEELi128ELi128ELi16ELi2ELi4ELi4ELi1ENST_IJLi8ELi2EEEES1Z_NST_IJLi8ELi1ELi1ELi2EEEENST_IJLi2ELi1ELi128ELi1EEEENST_IJLi1ELi2ELi0ELi3EEEES22_NST_IJLi4ELi1ELi1ELi2EEEES22_NST_IJLi1ELi1ELi1ELi2EEEES20_S21_S22_S22_S23_S22_S24_NST_IJLi0ELi1ELi2ELi3ELi4ELi5EEEELi5ELi4EEEDF16_NS5_IJPKDF16_EEEDF16_S8_S8_S9_NSB_INS5_IJSE_SG_SI_SI_SI_SG_SG_SK_SK_SK_SG_SN_SN_SP_SP_SR_SG_SG_NSQ_INS5_IJiNS_17integral_constantIiLi128EEEEEELb0EEENSF_INS2A_IiLi2EEEEEEEENS5_IJSU_SV_SW_SX_SY_SZ_S10_S11_S12_S13_S14_S15_S16_S17_S18_S19_S1A_NST_IJLi23EEEES1J_NST_IJLi24EEEEEEENS5_IJS1C_S10_S11_S12_S13_S14_S1D_S1E_S1F_S1G_S1H_S17_S18_S1A_S19_S1I_S1J_NST_IJLi26EEEENST_IJLi27ELi28EEEENST_IJLi29EEEEEEENST_IJLi26ELi27ELi28ELi29EEEElEENSB_INS5_IJSR_SP_SP_SR_SG_SG_S2D_S2F_EEENS5_IJSU_SV_SW_SY_SX_SZ_S11_S10_EEENS5_IJS1P_SX_SY_S1Q_S11_S12_NST_IJLi9ELi10EEEES1D_EEENST_IJLi8ELi9ELi10ELi11EEEElEENS5_IJNSB_INS5_IJSK_SP_SP_NSQ_INS5_IJiS2E_NS2A_IiLi64EEEEEELb0EEES2Y_EEENS5_IJSU_SV_SW_SX_SY_EEENS5_IJS1P_SX_SY_NST_IJLi5ELi6ELi7EEEENST_IJLi8ELi9ELi10EEEEEEENST_IJLi5ELi6ELi7ELi8ELi9ELi10EEEElEEEEES35_NS_31BlockToCTileMap_M00_N00_M01_N01ILi128ELi128ES1Y_Lb0EEENS1_30ComputePtrOffsetOfStridedBatchILi1ELi1ELi1EvEELb1ELb1EEEvPKT0_S3D_T1_PT2_T3_T4_T5_iT6_T7_T8_T9_T10_T11_.num_vgpr, 128
	.set _ZN2ck16tensor_operation6device12_GLOBAL__N_137kernel_grouped_conv_fwd_dl_multiple_dINS_32GridwiseGemmDlMultipleD_km_kn_mnILi256EDF16_fNS_5TupleIJDF16_EEEDF16_NS0_12element_wise11PassThroughES8_NS7_7AddReluELNS_25InMemoryDataOperationEnumE0ENS_16TensorDescriptorINS5_IJNS_5EmbedINS5_IJiiiiiEEESD_Lb0EEENS_11PassThroughIiEENS_3PadIiiiLb0EEESI_SI_SG_SG_NSC_INS5_IJiiEEESJ_Lb0EEESK_SK_SG_NS_23Merge_v2_magic_divisionINS5_IJiiiiEEEEESN_NS_8RightPadIiiLb0EEESP_NS_7UnMergeISJ_Lb0EEESG_EEENS5_IJNS_8SequenceIJLi0EEEENST_IJLi1EEEENST_IJLi2EEEENST_IJLi3EEEENST_IJLi4EEEENST_IJLi5EEEENST_IJLi6EEEENST_IJLi7EEEENST_IJLi8EEEENST_IJLi9EEEENST_IJLi10EEEENST_IJLi11ELi13ELi15ELi17EEEENST_IJLi12ELi14ELi16ELi18EEEENST_IJLi19EEEENST_IJLi20EEEENST_IJLi22EEEENST_IJLi21EEEEEEENS5_IJNST_IJLi1ELi2ELi3ELi4ELi5EEEES10_S11_S12_S13_S14_NST_IJLi11EEEENST_IJLi12ELi13EEEENST_IJLi14ELi15EEEENST_IJLi16ELi17EEEENST_IJLi18EEEES17_S18_S1A_S19_NST_IJLi23ELi24EEEENST_IJLi25EEEEEEENST_IJLi23ELi25ELi24EEEElEENSB_INS5_IJSR_SP_SP_SR_SG_EEENS5_IJSU_SV_SW_SY_SX_EEENS5_IJNST_IJLi1ELi2EEEESX_SY_NST_IJLi5ELi6EEEES11_EEENST_IJLi5ELi7ELi6EEEElEENSB_INS5_IJSK_SP_SP_EEENS5_IJSU_SV_SW_EEENS5_IJS1P_SX_SY_EEENST_IJLi3ELi4EEEElEELi128ELi128ELi16ELi2ELi4ELi4ELi1ENST_IJLi8ELi2EEEES1Z_NST_IJLi8ELi1ELi1ELi2EEEENST_IJLi2ELi1ELi128ELi1EEEENST_IJLi1ELi2ELi0ELi3EEEES22_NST_IJLi4ELi1ELi1ELi2EEEES22_NST_IJLi1ELi1ELi1ELi2EEEES20_S21_S22_S22_S23_S22_S24_NST_IJLi0ELi1ELi2ELi3ELi4ELi5EEEELi5ELi4EEEDF16_NS5_IJPKDF16_EEEDF16_S8_S8_S9_NSB_INS5_IJSE_SG_SI_SI_SI_SG_SG_SK_SK_SK_SG_SN_SN_SP_SP_SR_SG_SG_NSQ_INS5_IJiNS_17integral_constantIiLi128EEEEEELb0EEENSF_INS2A_IiLi2EEEEEEEENS5_IJSU_SV_SW_SX_SY_SZ_S10_S11_S12_S13_S14_S15_S16_S17_S18_S19_S1A_NST_IJLi23EEEES1J_NST_IJLi24EEEEEEENS5_IJS1C_S10_S11_S12_S13_S14_S1D_S1E_S1F_S1G_S1H_S17_S18_S1A_S19_S1I_S1J_NST_IJLi26EEEENST_IJLi27ELi28EEEENST_IJLi29EEEEEEENST_IJLi26ELi27ELi28ELi29EEEElEENSB_INS5_IJSR_SP_SP_SR_SG_SG_S2D_S2F_EEENS5_IJSU_SV_SW_SY_SX_SZ_S11_S10_EEENS5_IJS1P_SX_SY_S1Q_S11_S12_NST_IJLi9ELi10EEEES1D_EEENST_IJLi8ELi9ELi10ELi11EEEElEENS5_IJNSB_INS5_IJSK_SP_SP_NSQ_INS5_IJiS2E_NS2A_IiLi64EEEEEELb0EEES2Y_EEENS5_IJSU_SV_SW_SX_SY_EEENS5_IJS1P_SX_SY_NST_IJLi5ELi6ELi7EEEENST_IJLi8ELi9ELi10EEEEEEENST_IJLi5ELi6ELi7ELi8ELi9ELi10EEEElEEEEES35_NS_31BlockToCTileMap_M00_N00_M01_N01ILi128ELi128ES1Y_Lb0EEENS1_30ComputePtrOffsetOfStridedBatchILi1ELi1ELi1EvEELb1ELb1EEEvPKT0_S3D_T1_PT2_T3_T4_T5_iT6_T7_T8_T9_T10_T11_.num_agpr, 0
	.set _ZN2ck16tensor_operation6device12_GLOBAL__N_137kernel_grouped_conv_fwd_dl_multiple_dINS_32GridwiseGemmDlMultipleD_km_kn_mnILi256EDF16_fNS_5TupleIJDF16_EEEDF16_NS0_12element_wise11PassThroughES8_NS7_7AddReluELNS_25InMemoryDataOperationEnumE0ENS_16TensorDescriptorINS5_IJNS_5EmbedINS5_IJiiiiiEEESD_Lb0EEENS_11PassThroughIiEENS_3PadIiiiLb0EEESI_SI_SG_SG_NSC_INS5_IJiiEEESJ_Lb0EEESK_SK_SG_NS_23Merge_v2_magic_divisionINS5_IJiiiiEEEEESN_NS_8RightPadIiiLb0EEESP_NS_7UnMergeISJ_Lb0EEESG_EEENS5_IJNS_8SequenceIJLi0EEEENST_IJLi1EEEENST_IJLi2EEEENST_IJLi3EEEENST_IJLi4EEEENST_IJLi5EEEENST_IJLi6EEEENST_IJLi7EEEENST_IJLi8EEEENST_IJLi9EEEENST_IJLi10EEEENST_IJLi11ELi13ELi15ELi17EEEENST_IJLi12ELi14ELi16ELi18EEEENST_IJLi19EEEENST_IJLi20EEEENST_IJLi22EEEENST_IJLi21EEEEEEENS5_IJNST_IJLi1ELi2ELi3ELi4ELi5EEEES10_S11_S12_S13_S14_NST_IJLi11EEEENST_IJLi12ELi13EEEENST_IJLi14ELi15EEEENST_IJLi16ELi17EEEENST_IJLi18EEEES17_S18_S1A_S19_NST_IJLi23ELi24EEEENST_IJLi25EEEEEEENST_IJLi23ELi25ELi24EEEElEENSB_INS5_IJSR_SP_SP_SR_SG_EEENS5_IJSU_SV_SW_SY_SX_EEENS5_IJNST_IJLi1ELi2EEEESX_SY_NST_IJLi5ELi6EEEES11_EEENST_IJLi5ELi7ELi6EEEElEENSB_INS5_IJSK_SP_SP_EEENS5_IJSU_SV_SW_EEENS5_IJS1P_SX_SY_EEENST_IJLi3ELi4EEEElEELi128ELi128ELi16ELi2ELi4ELi4ELi1ENST_IJLi8ELi2EEEES1Z_NST_IJLi8ELi1ELi1ELi2EEEENST_IJLi2ELi1ELi128ELi1EEEENST_IJLi1ELi2ELi0ELi3EEEES22_NST_IJLi4ELi1ELi1ELi2EEEES22_NST_IJLi1ELi1ELi1ELi2EEEES20_S21_S22_S22_S23_S22_S24_NST_IJLi0ELi1ELi2ELi3ELi4ELi5EEEELi5ELi4EEEDF16_NS5_IJPKDF16_EEEDF16_S8_S8_S9_NSB_INS5_IJSE_SG_SI_SI_SI_SG_SG_SK_SK_SK_SG_SN_SN_SP_SP_SR_SG_SG_NSQ_INS5_IJiNS_17integral_constantIiLi128EEEEEELb0EEENSF_INS2A_IiLi2EEEEEEEENS5_IJSU_SV_SW_SX_SY_SZ_S10_S11_S12_S13_S14_S15_S16_S17_S18_S19_S1A_NST_IJLi23EEEES1J_NST_IJLi24EEEEEEENS5_IJS1C_S10_S11_S12_S13_S14_S1D_S1E_S1F_S1G_S1H_S17_S18_S1A_S19_S1I_S1J_NST_IJLi26EEEENST_IJLi27ELi28EEEENST_IJLi29EEEEEEENST_IJLi26ELi27ELi28ELi29EEEElEENSB_INS5_IJSR_SP_SP_SR_SG_SG_S2D_S2F_EEENS5_IJSU_SV_SW_SY_SX_SZ_S11_S10_EEENS5_IJS1P_SX_SY_S1Q_S11_S12_NST_IJLi9ELi10EEEES1D_EEENST_IJLi8ELi9ELi10ELi11EEEElEENS5_IJNSB_INS5_IJSK_SP_SP_NSQ_INS5_IJiS2E_NS2A_IiLi64EEEEEELb0EEES2Y_EEENS5_IJSU_SV_SW_SX_SY_EEENS5_IJS1P_SX_SY_NST_IJLi5ELi6ELi7EEEENST_IJLi8ELi9ELi10EEEEEEENST_IJLi5ELi6ELi7ELi8ELi9ELi10EEEElEEEEES35_NS_31BlockToCTileMap_M00_N00_M01_N01ILi128ELi128ES1Y_Lb0EEENS1_30ComputePtrOffsetOfStridedBatchILi1ELi1ELi1EvEELb1ELb1EEEvPKT0_S3D_T1_PT2_T3_T4_T5_iT6_T7_T8_T9_T10_T11_.numbered_sgpr, 84
	.set _ZN2ck16tensor_operation6device12_GLOBAL__N_137kernel_grouped_conv_fwd_dl_multiple_dINS_32GridwiseGemmDlMultipleD_km_kn_mnILi256EDF16_fNS_5TupleIJDF16_EEEDF16_NS0_12element_wise11PassThroughES8_NS7_7AddReluELNS_25InMemoryDataOperationEnumE0ENS_16TensorDescriptorINS5_IJNS_5EmbedINS5_IJiiiiiEEESD_Lb0EEENS_11PassThroughIiEENS_3PadIiiiLb0EEESI_SI_SG_SG_NSC_INS5_IJiiEEESJ_Lb0EEESK_SK_SG_NS_23Merge_v2_magic_divisionINS5_IJiiiiEEEEESN_NS_8RightPadIiiLb0EEESP_NS_7UnMergeISJ_Lb0EEESG_EEENS5_IJNS_8SequenceIJLi0EEEENST_IJLi1EEEENST_IJLi2EEEENST_IJLi3EEEENST_IJLi4EEEENST_IJLi5EEEENST_IJLi6EEEENST_IJLi7EEEENST_IJLi8EEEENST_IJLi9EEEENST_IJLi10EEEENST_IJLi11ELi13ELi15ELi17EEEENST_IJLi12ELi14ELi16ELi18EEEENST_IJLi19EEEENST_IJLi20EEEENST_IJLi22EEEENST_IJLi21EEEEEEENS5_IJNST_IJLi1ELi2ELi3ELi4ELi5EEEES10_S11_S12_S13_S14_NST_IJLi11EEEENST_IJLi12ELi13EEEENST_IJLi14ELi15EEEENST_IJLi16ELi17EEEENST_IJLi18EEEES17_S18_S1A_S19_NST_IJLi23ELi24EEEENST_IJLi25EEEEEEENST_IJLi23ELi25ELi24EEEElEENSB_INS5_IJSR_SP_SP_SR_SG_EEENS5_IJSU_SV_SW_SY_SX_EEENS5_IJNST_IJLi1ELi2EEEESX_SY_NST_IJLi5ELi6EEEES11_EEENST_IJLi5ELi7ELi6EEEElEENSB_INS5_IJSK_SP_SP_EEENS5_IJSU_SV_SW_EEENS5_IJS1P_SX_SY_EEENST_IJLi3ELi4EEEElEELi128ELi128ELi16ELi2ELi4ELi4ELi1ENST_IJLi8ELi2EEEES1Z_NST_IJLi8ELi1ELi1ELi2EEEENST_IJLi2ELi1ELi128ELi1EEEENST_IJLi1ELi2ELi0ELi3EEEES22_NST_IJLi4ELi1ELi1ELi2EEEES22_NST_IJLi1ELi1ELi1ELi2EEEES20_S21_S22_S22_S23_S22_S24_NST_IJLi0ELi1ELi2ELi3ELi4ELi5EEEELi5ELi4EEEDF16_NS5_IJPKDF16_EEEDF16_S8_S8_S9_NSB_INS5_IJSE_SG_SI_SI_SI_SG_SG_SK_SK_SK_SG_SN_SN_SP_SP_SR_SG_SG_NSQ_INS5_IJiNS_17integral_constantIiLi128EEEEEELb0EEENSF_INS2A_IiLi2EEEEEEEENS5_IJSU_SV_SW_SX_SY_SZ_S10_S11_S12_S13_S14_S15_S16_S17_S18_S19_S1A_NST_IJLi23EEEES1J_NST_IJLi24EEEEEEENS5_IJS1C_S10_S11_S12_S13_S14_S1D_S1E_S1F_S1G_S1H_S17_S18_S1A_S19_S1I_S1J_NST_IJLi26EEEENST_IJLi27ELi28EEEENST_IJLi29EEEEEEENST_IJLi26ELi27ELi28ELi29EEEElEENSB_INS5_IJSR_SP_SP_SR_SG_SG_S2D_S2F_EEENS5_IJSU_SV_SW_SY_SX_SZ_S11_S10_EEENS5_IJS1P_SX_SY_S1Q_S11_S12_NST_IJLi9ELi10EEEES1D_EEENST_IJLi8ELi9ELi10ELi11EEEElEENS5_IJNSB_INS5_IJSK_SP_SP_NSQ_INS5_IJiS2E_NS2A_IiLi64EEEEEELb0EEES2Y_EEENS5_IJSU_SV_SW_SX_SY_EEENS5_IJS1P_SX_SY_NST_IJLi5ELi6ELi7EEEENST_IJLi8ELi9ELi10EEEEEEENST_IJLi5ELi6ELi7ELi8ELi9ELi10EEEElEEEEES35_NS_31BlockToCTileMap_M00_N00_M01_N01ILi128ELi128ES1Y_Lb0EEENS1_30ComputePtrOffsetOfStridedBatchILi1ELi1ELi1EvEELb1ELb1EEEvPKT0_S3D_T1_PT2_T3_T4_T5_iT6_T7_T8_T9_T10_T11_.num_named_barrier, 0
	.set _ZN2ck16tensor_operation6device12_GLOBAL__N_137kernel_grouped_conv_fwd_dl_multiple_dINS_32GridwiseGemmDlMultipleD_km_kn_mnILi256EDF16_fNS_5TupleIJDF16_EEEDF16_NS0_12element_wise11PassThroughES8_NS7_7AddReluELNS_25InMemoryDataOperationEnumE0ENS_16TensorDescriptorINS5_IJNS_5EmbedINS5_IJiiiiiEEESD_Lb0EEENS_11PassThroughIiEENS_3PadIiiiLb0EEESI_SI_SG_SG_NSC_INS5_IJiiEEESJ_Lb0EEESK_SK_SG_NS_23Merge_v2_magic_divisionINS5_IJiiiiEEEEESN_NS_8RightPadIiiLb0EEESP_NS_7UnMergeISJ_Lb0EEESG_EEENS5_IJNS_8SequenceIJLi0EEEENST_IJLi1EEEENST_IJLi2EEEENST_IJLi3EEEENST_IJLi4EEEENST_IJLi5EEEENST_IJLi6EEEENST_IJLi7EEEENST_IJLi8EEEENST_IJLi9EEEENST_IJLi10EEEENST_IJLi11ELi13ELi15ELi17EEEENST_IJLi12ELi14ELi16ELi18EEEENST_IJLi19EEEENST_IJLi20EEEENST_IJLi22EEEENST_IJLi21EEEEEEENS5_IJNST_IJLi1ELi2ELi3ELi4ELi5EEEES10_S11_S12_S13_S14_NST_IJLi11EEEENST_IJLi12ELi13EEEENST_IJLi14ELi15EEEENST_IJLi16ELi17EEEENST_IJLi18EEEES17_S18_S1A_S19_NST_IJLi23ELi24EEEENST_IJLi25EEEEEEENST_IJLi23ELi25ELi24EEEElEENSB_INS5_IJSR_SP_SP_SR_SG_EEENS5_IJSU_SV_SW_SY_SX_EEENS5_IJNST_IJLi1ELi2EEEESX_SY_NST_IJLi5ELi6EEEES11_EEENST_IJLi5ELi7ELi6EEEElEENSB_INS5_IJSK_SP_SP_EEENS5_IJSU_SV_SW_EEENS5_IJS1P_SX_SY_EEENST_IJLi3ELi4EEEElEELi128ELi128ELi16ELi2ELi4ELi4ELi1ENST_IJLi8ELi2EEEES1Z_NST_IJLi8ELi1ELi1ELi2EEEENST_IJLi2ELi1ELi128ELi1EEEENST_IJLi1ELi2ELi0ELi3EEEES22_NST_IJLi4ELi1ELi1ELi2EEEES22_NST_IJLi1ELi1ELi1ELi2EEEES20_S21_S22_S22_S23_S22_S24_NST_IJLi0ELi1ELi2ELi3ELi4ELi5EEEELi5ELi4EEEDF16_NS5_IJPKDF16_EEEDF16_S8_S8_S9_NSB_INS5_IJSE_SG_SI_SI_SI_SG_SG_SK_SK_SK_SG_SN_SN_SP_SP_SR_SG_SG_NSQ_INS5_IJiNS_17integral_constantIiLi128EEEEEELb0EEENSF_INS2A_IiLi2EEEEEEEENS5_IJSU_SV_SW_SX_SY_SZ_S10_S11_S12_S13_S14_S15_S16_S17_S18_S19_S1A_NST_IJLi23EEEES1J_NST_IJLi24EEEEEEENS5_IJS1C_S10_S11_S12_S13_S14_S1D_S1E_S1F_S1G_S1H_S17_S18_S1A_S19_S1I_S1J_NST_IJLi26EEEENST_IJLi27ELi28EEEENST_IJLi29EEEEEEENST_IJLi26ELi27ELi28ELi29EEEElEENSB_INS5_IJSR_SP_SP_SR_SG_SG_S2D_S2F_EEENS5_IJSU_SV_SW_SY_SX_SZ_S11_S10_EEENS5_IJS1P_SX_SY_S1Q_S11_S12_NST_IJLi9ELi10EEEES1D_EEENST_IJLi8ELi9ELi10ELi11EEEElEENS5_IJNSB_INS5_IJSK_SP_SP_NSQ_INS5_IJiS2E_NS2A_IiLi64EEEEEELb0EEES2Y_EEENS5_IJSU_SV_SW_SX_SY_EEENS5_IJS1P_SX_SY_NST_IJLi5ELi6ELi7EEEENST_IJLi8ELi9ELi10EEEEEEENST_IJLi5ELi6ELi7ELi8ELi9ELi10EEEElEEEEES35_NS_31BlockToCTileMap_M00_N00_M01_N01ILi128ELi128ES1Y_Lb0EEENS1_30ComputePtrOffsetOfStridedBatchILi1ELi1ELi1EvEELb1ELb1EEEvPKT0_S3D_T1_PT2_T3_T4_T5_iT6_T7_T8_T9_T10_T11_.private_seg_size, 164
	.set _ZN2ck16tensor_operation6device12_GLOBAL__N_137kernel_grouped_conv_fwd_dl_multiple_dINS_32GridwiseGemmDlMultipleD_km_kn_mnILi256EDF16_fNS_5TupleIJDF16_EEEDF16_NS0_12element_wise11PassThroughES8_NS7_7AddReluELNS_25InMemoryDataOperationEnumE0ENS_16TensorDescriptorINS5_IJNS_5EmbedINS5_IJiiiiiEEESD_Lb0EEENS_11PassThroughIiEENS_3PadIiiiLb0EEESI_SI_SG_SG_NSC_INS5_IJiiEEESJ_Lb0EEESK_SK_SG_NS_23Merge_v2_magic_divisionINS5_IJiiiiEEEEESN_NS_8RightPadIiiLb0EEESP_NS_7UnMergeISJ_Lb0EEESG_EEENS5_IJNS_8SequenceIJLi0EEEENST_IJLi1EEEENST_IJLi2EEEENST_IJLi3EEEENST_IJLi4EEEENST_IJLi5EEEENST_IJLi6EEEENST_IJLi7EEEENST_IJLi8EEEENST_IJLi9EEEENST_IJLi10EEEENST_IJLi11ELi13ELi15ELi17EEEENST_IJLi12ELi14ELi16ELi18EEEENST_IJLi19EEEENST_IJLi20EEEENST_IJLi22EEEENST_IJLi21EEEEEEENS5_IJNST_IJLi1ELi2ELi3ELi4ELi5EEEES10_S11_S12_S13_S14_NST_IJLi11EEEENST_IJLi12ELi13EEEENST_IJLi14ELi15EEEENST_IJLi16ELi17EEEENST_IJLi18EEEES17_S18_S1A_S19_NST_IJLi23ELi24EEEENST_IJLi25EEEEEEENST_IJLi23ELi25ELi24EEEElEENSB_INS5_IJSR_SP_SP_SR_SG_EEENS5_IJSU_SV_SW_SY_SX_EEENS5_IJNST_IJLi1ELi2EEEESX_SY_NST_IJLi5ELi6EEEES11_EEENST_IJLi5ELi7ELi6EEEElEENSB_INS5_IJSK_SP_SP_EEENS5_IJSU_SV_SW_EEENS5_IJS1P_SX_SY_EEENST_IJLi3ELi4EEEElEELi128ELi128ELi16ELi2ELi4ELi4ELi1ENST_IJLi8ELi2EEEES1Z_NST_IJLi8ELi1ELi1ELi2EEEENST_IJLi2ELi1ELi128ELi1EEEENST_IJLi1ELi2ELi0ELi3EEEES22_NST_IJLi4ELi1ELi1ELi2EEEES22_NST_IJLi1ELi1ELi1ELi2EEEES20_S21_S22_S22_S23_S22_S24_NST_IJLi0ELi1ELi2ELi3ELi4ELi5EEEELi5ELi4EEEDF16_NS5_IJPKDF16_EEEDF16_S8_S8_S9_NSB_INS5_IJSE_SG_SI_SI_SI_SG_SG_SK_SK_SK_SG_SN_SN_SP_SP_SR_SG_SG_NSQ_INS5_IJiNS_17integral_constantIiLi128EEEEEELb0EEENSF_INS2A_IiLi2EEEEEEEENS5_IJSU_SV_SW_SX_SY_SZ_S10_S11_S12_S13_S14_S15_S16_S17_S18_S19_S1A_NST_IJLi23EEEES1J_NST_IJLi24EEEEEEENS5_IJS1C_S10_S11_S12_S13_S14_S1D_S1E_S1F_S1G_S1H_S17_S18_S1A_S19_S1I_S1J_NST_IJLi26EEEENST_IJLi27ELi28EEEENST_IJLi29EEEEEEENST_IJLi26ELi27ELi28ELi29EEEElEENSB_INS5_IJSR_SP_SP_SR_SG_SG_S2D_S2F_EEENS5_IJSU_SV_SW_SY_SX_SZ_S11_S10_EEENS5_IJS1P_SX_SY_S1Q_S11_S12_NST_IJLi9ELi10EEEES1D_EEENST_IJLi8ELi9ELi10ELi11EEEElEENS5_IJNSB_INS5_IJSK_SP_SP_NSQ_INS5_IJiS2E_NS2A_IiLi64EEEEEELb0EEES2Y_EEENS5_IJSU_SV_SW_SX_SY_EEENS5_IJS1P_SX_SY_NST_IJLi5ELi6ELi7EEEENST_IJLi8ELi9ELi10EEEEEEENST_IJLi5ELi6ELi7ELi8ELi9ELi10EEEElEEEEES35_NS_31BlockToCTileMap_M00_N00_M01_N01ILi128ELi128ES1Y_Lb0EEENS1_30ComputePtrOffsetOfStridedBatchILi1ELi1ELi1EvEELb1ELb1EEEvPKT0_S3D_T1_PT2_T3_T4_T5_iT6_T7_T8_T9_T10_T11_.uses_vcc, 1
	.set _ZN2ck16tensor_operation6device12_GLOBAL__N_137kernel_grouped_conv_fwd_dl_multiple_dINS_32GridwiseGemmDlMultipleD_km_kn_mnILi256EDF16_fNS_5TupleIJDF16_EEEDF16_NS0_12element_wise11PassThroughES8_NS7_7AddReluELNS_25InMemoryDataOperationEnumE0ENS_16TensorDescriptorINS5_IJNS_5EmbedINS5_IJiiiiiEEESD_Lb0EEENS_11PassThroughIiEENS_3PadIiiiLb0EEESI_SI_SG_SG_NSC_INS5_IJiiEEESJ_Lb0EEESK_SK_SG_NS_23Merge_v2_magic_divisionINS5_IJiiiiEEEEESN_NS_8RightPadIiiLb0EEESP_NS_7UnMergeISJ_Lb0EEESG_EEENS5_IJNS_8SequenceIJLi0EEEENST_IJLi1EEEENST_IJLi2EEEENST_IJLi3EEEENST_IJLi4EEEENST_IJLi5EEEENST_IJLi6EEEENST_IJLi7EEEENST_IJLi8EEEENST_IJLi9EEEENST_IJLi10EEEENST_IJLi11ELi13ELi15ELi17EEEENST_IJLi12ELi14ELi16ELi18EEEENST_IJLi19EEEENST_IJLi20EEEENST_IJLi22EEEENST_IJLi21EEEEEEENS5_IJNST_IJLi1ELi2ELi3ELi4ELi5EEEES10_S11_S12_S13_S14_NST_IJLi11EEEENST_IJLi12ELi13EEEENST_IJLi14ELi15EEEENST_IJLi16ELi17EEEENST_IJLi18EEEES17_S18_S1A_S19_NST_IJLi23ELi24EEEENST_IJLi25EEEEEEENST_IJLi23ELi25ELi24EEEElEENSB_INS5_IJSR_SP_SP_SR_SG_EEENS5_IJSU_SV_SW_SY_SX_EEENS5_IJNST_IJLi1ELi2EEEESX_SY_NST_IJLi5ELi6EEEES11_EEENST_IJLi5ELi7ELi6EEEElEENSB_INS5_IJSK_SP_SP_EEENS5_IJSU_SV_SW_EEENS5_IJS1P_SX_SY_EEENST_IJLi3ELi4EEEElEELi128ELi128ELi16ELi2ELi4ELi4ELi1ENST_IJLi8ELi2EEEES1Z_NST_IJLi8ELi1ELi1ELi2EEEENST_IJLi2ELi1ELi128ELi1EEEENST_IJLi1ELi2ELi0ELi3EEEES22_NST_IJLi4ELi1ELi1ELi2EEEES22_NST_IJLi1ELi1ELi1ELi2EEEES20_S21_S22_S22_S23_S22_S24_NST_IJLi0ELi1ELi2ELi3ELi4ELi5EEEELi5ELi4EEEDF16_NS5_IJPKDF16_EEEDF16_S8_S8_S9_NSB_INS5_IJSE_SG_SI_SI_SI_SG_SG_SK_SK_SK_SG_SN_SN_SP_SP_SR_SG_SG_NSQ_INS5_IJiNS_17integral_constantIiLi128EEEEEELb0EEENSF_INS2A_IiLi2EEEEEEEENS5_IJSU_SV_SW_SX_SY_SZ_S10_S11_S12_S13_S14_S15_S16_S17_S18_S19_S1A_NST_IJLi23EEEES1J_NST_IJLi24EEEEEEENS5_IJS1C_S10_S11_S12_S13_S14_S1D_S1E_S1F_S1G_S1H_S17_S18_S1A_S19_S1I_S1J_NST_IJLi26EEEENST_IJLi27ELi28EEEENST_IJLi29EEEEEEENST_IJLi26ELi27ELi28ELi29EEEElEENSB_INS5_IJSR_SP_SP_SR_SG_SG_S2D_S2F_EEENS5_IJSU_SV_SW_SY_SX_SZ_S11_S10_EEENS5_IJS1P_SX_SY_S1Q_S11_S12_NST_IJLi9ELi10EEEES1D_EEENST_IJLi8ELi9ELi10ELi11EEEElEENS5_IJNSB_INS5_IJSK_SP_SP_NSQ_INS5_IJiS2E_NS2A_IiLi64EEEEEELb0EEES2Y_EEENS5_IJSU_SV_SW_SX_SY_EEENS5_IJS1P_SX_SY_NST_IJLi5ELi6ELi7EEEENST_IJLi8ELi9ELi10EEEEEEENST_IJLi5ELi6ELi7ELi8ELi9ELi10EEEElEEEEES35_NS_31BlockToCTileMap_M00_N00_M01_N01ILi128ELi128ES1Y_Lb0EEENS1_30ComputePtrOffsetOfStridedBatchILi1ELi1ELi1EvEELb1ELb1EEEvPKT0_S3D_T1_PT2_T3_T4_T5_iT6_T7_T8_T9_T10_T11_.uses_flat_scratch, 0
	.set _ZN2ck16tensor_operation6device12_GLOBAL__N_137kernel_grouped_conv_fwd_dl_multiple_dINS_32GridwiseGemmDlMultipleD_km_kn_mnILi256EDF16_fNS_5TupleIJDF16_EEEDF16_NS0_12element_wise11PassThroughES8_NS7_7AddReluELNS_25InMemoryDataOperationEnumE0ENS_16TensorDescriptorINS5_IJNS_5EmbedINS5_IJiiiiiEEESD_Lb0EEENS_11PassThroughIiEENS_3PadIiiiLb0EEESI_SI_SG_SG_NSC_INS5_IJiiEEESJ_Lb0EEESK_SK_SG_NS_23Merge_v2_magic_divisionINS5_IJiiiiEEEEESN_NS_8RightPadIiiLb0EEESP_NS_7UnMergeISJ_Lb0EEESG_EEENS5_IJNS_8SequenceIJLi0EEEENST_IJLi1EEEENST_IJLi2EEEENST_IJLi3EEEENST_IJLi4EEEENST_IJLi5EEEENST_IJLi6EEEENST_IJLi7EEEENST_IJLi8EEEENST_IJLi9EEEENST_IJLi10EEEENST_IJLi11ELi13ELi15ELi17EEEENST_IJLi12ELi14ELi16ELi18EEEENST_IJLi19EEEENST_IJLi20EEEENST_IJLi22EEEENST_IJLi21EEEEEEENS5_IJNST_IJLi1ELi2ELi3ELi4ELi5EEEES10_S11_S12_S13_S14_NST_IJLi11EEEENST_IJLi12ELi13EEEENST_IJLi14ELi15EEEENST_IJLi16ELi17EEEENST_IJLi18EEEES17_S18_S1A_S19_NST_IJLi23ELi24EEEENST_IJLi25EEEEEEENST_IJLi23ELi25ELi24EEEElEENSB_INS5_IJSR_SP_SP_SR_SG_EEENS5_IJSU_SV_SW_SY_SX_EEENS5_IJNST_IJLi1ELi2EEEESX_SY_NST_IJLi5ELi6EEEES11_EEENST_IJLi5ELi7ELi6EEEElEENSB_INS5_IJSK_SP_SP_EEENS5_IJSU_SV_SW_EEENS5_IJS1P_SX_SY_EEENST_IJLi3ELi4EEEElEELi128ELi128ELi16ELi2ELi4ELi4ELi1ENST_IJLi8ELi2EEEES1Z_NST_IJLi8ELi1ELi1ELi2EEEENST_IJLi2ELi1ELi128ELi1EEEENST_IJLi1ELi2ELi0ELi3EEEES22_NST_IJLi4ELi1ELi1ELi2EEEES22_NST_IJLi1ELi1ELi1ELi2EEEES20_S21_S22_S22_S23_S22_S24_NST_IJLi0ELi1ELi2ELi3ELi4ELi5EEEELi5ELi4EEEDF16_NS5_IJPKDF16_EEEDF16_S8_S8_S9_NSB_INS5_IJSE_SG_SI_SI_SI_SG_SG_SK_SK_SK_SG_SN_SN_SP_SP_SR_SG_SG_NSQ_INS5_IJiNS_17integral_constantIiLi128EEEEEELb0EEENSF_INS2A_IiLi2EEEEEEEENS5_IJSU_SV_SW_SX_SY_SZ_S10_S11_S12_S13_S14_S15_S16_S17_S18_S19_S1A_NST_IJLi23EEEES1J_NST_IJLi24EEEEEEENS5_IJS1C_S10_S11_S12_S13_S14_S1D_S1E_S1F_S1G_S1H_S17_S18_S1A_S19_S1I_S1J_NST_IJLi26EEEENST_IJLi27ELi28EEEENST_IJLi29EEEEEEENST_IJLi26ELi27ELi28ELi29EEEElEENSB_INS5_IJSR_SP_SP_SR_SG_SG_S2D_S2F_EEENS5_IJSU_SV_SW_SY_SX_SZ_S11_S10_EEENS5_IJS1P_SX_SY_S1Q_S11_S12_NST_IJLi9ELi10EEEES1D_EEENST_IJLi8ELi9ELi10ELi11EEEElEENS5_IJNSB_INS5_IJSK_SP_SP_NSQ_INS5_IJiS2E_NS2A_IiLi64EEEEEELb0EEES2Y_EEENS5_IJSU_SV_SW_SX_SY_EEENS5_IJS1P_SX_SY_NST_IJLi5ELi6ELi7EEEENST_IJLi8ELi9ELi10EEEEEEENST_IJLi5ELi6ELi7ELi8ELi9ELi10EEEElEEEEES35_NS_31BlockToCTileMap_M00_N00_M01_N01ILi128ELi128ES1Y_Lb0EEENS1_30ComputePtrOffsetOfStridedBatchILi1ELi1ELi1EvEELb1ELb1EEEvPKT0_S3D_T1_PT2_T3_T4_T5_iT6_T7_T8_T9_T10_T11_.has_dyn_sized_stack, 0
	.set _ZN2ck16tensor_operation6device12_GLOBAL__N_137kernel_grouped_conv_fwd_dl_multiple_dINS_32GridwiseGemmDlMultipleD_km_kn_mnILi256EDF16_fNS_5TupleIJDF16_EEEDF16_NS0_12element_wise11PassThroughES8_NS7_7AddReluELNS_25InMemoryDataOperationEnumE0ENS_16TensorDescriptorINS5_IJNS_5EmbedINS5_IJiiiiiEEESD_Lb0EEENS_11PassThroughIiEENS_3PadIiiiLb0EEESI_SI_SG_SG_NSC_INS5_IJiiEEESJ_Lb0EEESK_SK_SG_NS_23Merge_v2_magic_divisionINS5_IJiiiiEEEEESN_NS_8RightPadIiiLb0EEESP_NS_7UnMergeISJ_Lb0EEESG_EEENS5_IJNS_8SequenceIJLi0EEEENST_IJLi1EEEENST_IJLi2EEEENST_IJLi3EEEENST_IJLi4EEEENST_IJLi5EEEENST_IJLi6EEEENST_IJLi7EEEENST_IJLi8EEEENST_IJLi9EEEENST_IJLi10EEEENST_IJLi11ELi13ELi15ELi17EEEENST_IJLi12ELi14ELi16ELi18EEEENST_IJLi19EEEENST_IJLi20EEEENST_IJLi22EEEENST_IJLi21EEEEEEENS5_IJNST_IJLi1ELi2ELi3ELi4ELi5EEEES10_S11_S12_S13_S14_NST_IJLi11EEEENST_IJLi12ELi13EEEENST_IJLi14ELi15EEEENST_IJLi16ELi17EEEENST_IJLi18EEEES17_S18_S1A_S19_NST_IJLi23ELi24EEEENST_IJLi25EEEEEEENST_IJLi23ELi25ELi24EEEElEENSB_INS5_IJSR_SP_SP_SR_SG_EEENS5_IJSU_SV_SW_SY_SX_EEENS5_IJNST_IJLi1ELi2EEEESX_SY_NST_IJLi5ELi6EEEES11_EEENST_IJLi5ELi7ELi6EEEElEENSB_INS5_IJSK_SP_SP_EEENS5_IJSU_SV_SW_EEENS5_IJS1P_SX_SY_EEENST_IJLi3ELi4EEEElEELi128ELi128ELi16ELi2ELi4ELi4ELi1ENST_IJLi8ELi2EEEES1Z_NST_IJLi8ELi1ELi1ELi2EEEENST_IJLi2ELi1ELi128ELi1EEEENST_IJLi1ELi2ELi0ELi3EEEES22_NST_IJLi4ELi1ELi1ELi2EEEES22_NST_IJLi1ELi1ELi1ELi2EEEES20_S21_S22_S22_S23_S22_S24_NST_IJLi0ELi1ELi2ELi3ELi4ELi5EEEELi5ELi4EEEDF16_NS5_IJPKDF16_EEEDF16_S8_S8_S9_NSB_INS5_IJSE_SG_SI_SI_SI_SG_SG_SK_SK_SK_SG_SN_SN_SP_SP_SR_SG_SG_NSQ_INS5_IJiNS_17integral_constantIiLi128EEEEEELb0EEENSF_INS2A_IiLi2EEEEEEEENS5_IJSU_SV_SW_SX_SY_SZ_S10_S11_S12_S13_S14_S15_S16_S17_S18_S19_S1A_NST_IJLi23EEEES1J_NST_IJLi24EEEEEEENS5_IJS1C_S10_S11_S12_S13_S14_S1D_S1E_S1F_S1G_S1H_S17_S18_S1A_S19_S1I_S1J_NST_IJLi26EEEENST_IJLi27ELi28EEEENST_IJLi29EEEEEEENST_IJLi26ELi27ELi28ELi29EEEElEENSB_INS5_IJSR_SP_SP_SR_SG_SG_S2D_S2F_EEENS5_IJSU_SV_SW_SY_SX_SZ_S11_S10_EEENS5_IJS1P_SX_SY_S1Q_S11_S12_NST_IJLi9ELi10EEEES1D_EEENST_IJLi8ELi9ELi10ELi11EEEElEENS5_IJNSB_INS5_IJSK_SP_SP_NSQ_INS5_IJiS2E_NS2A_IiLi64EEEEEELb0EEES2Y_EEENS5_IJSU_SV_SW_SX_SY_EEENS5_IJS1P_SX_SY_NST_IJLi5ELi6ELi7EEEENST_IJLi8ELi9ELi10EEEEEEENST_IJLi5ELi6ELi7ELi8ELi9ELi10EEEElEEEEES35_NS_31BlockToCTileMap_M00_N00_M01_N01ILi128ELi128ES1Y_Lb0EEENS1_30ComputePtrOffsetOfStridedBatchILi1ELi1ELi1EvEELb1ELb1EEEvPKT0_S3D_T1_PT2_T3_T4_T5_iT6_T7_T8_T9_T10_T11_.has_recursion, 0
	.set _ZN2ck16tensor_operation6device12_GLOBAL__N_137kernel_grouped_conv_fwd_dl_multiple_dINS_32GridwiseGemmDlMultipleD_km_kn_mnILi256EDF16_fNS_5TupleIJDF16_EEEDF16_NS0_12element_wise11PassThroughES8_NS7_7AddReluELNS_25InMemoryDataOperationEnumE0ENS_16TensorDescriptorINS5_IJNS_5EmbedINS5_IJiiiiiEEESD_Lb0EEENS_11PassThroughIiEENS_3PadIiiiLb0EEESI_SI_SG_SG_NSC_INS5_IJiiEEESJ_Lb0EEESK_SK_SG_NS_23Merge_v2_magic_divisionINS5_IJiiiiEEEEESN_NS_8RightPadIiiLb0EEESP_NS_7UnMergeISJ_Lb0EEESG_EEENS5_IJNS_8SequenceIJLi0EEEENST_IJLi1EEEENST_IJLi2EEEENST_IJLi3EEEENST_IJLi4EEEENST_IJLi5EEEENST_IJLi6EEEENST_IJLi7EEEENST_IJLi8EEEENST_IJLi9EEEENST_IJLi10EEEENST_IJLi11ELi13ELi15ELi17EEEENST_IJLi12ELi14ELi16ELi18EEEENST_IJLi19EEEENST_IJLi20EEEENST_IJLi22EEEENST_IJLi21EEEEEEENS5_IJNST_IJLi1ELi2ELi3ELi4ELi5EEEES10_S11_S12_S13_S14_NST_IJLi11EEEENST_IJLi12ELi13EEEENST_IJLi14ELi15EEEENST_IJLi16ELi17EEEENST_IJLi18EEEES17_S18_S1A_S19_NST_IJLi23ELi24EEEENST_IJLi25EEEEEEENST_IJLi23ELi25ELi24EEEElEENSB_INS5_IJSR_SP_SP_SR_SG_EEENS5_IJSU_SV_SW_SY_SX_EEENS5_IJNST_IJLi1ELi2EEEESX_SY_NST_IJLi5ELi6EEEES11_EEENST_IJLi5ELi7ELi6EEEElEENSB_INS5_IJSK_SP_SP_EEENS5_IJSU_SV_SW_EEENS5_IJS1P_SX_SY_EEENST_IJLi3ELi4EEEElEELi128ELi128ELi16ELi2ELi4ELi4ELi1ENST_IJLi8ELi2EEEES1Z_NST_IJLi8ELi1ELi1ELi2EEEENST_IJLi2ELi1ELi128ELi1EEEENST_IJLi1ELi2ELi0ELi3EEEES22_NST_IJLi4ELi1ELi1ELi2EEEES22_NST_IJLi1ELi1ELi1ELi2EEEES20_S21_S22_S22_S23_S22_S24_NST_IJLi0ELi1ELi2ELi3ELi4ELi5EEEELi5ELi4EEEDF16_NS5_IJPKDF16_EEEDF16_S8_S8_S9_NSB_INS5_IJSE_SG_SI_SI_SI_SG_SG_SK_SK_SK_SG_SN_SN_SP_SP_SR_SG_SG_NSQ_INS5_IJiNS_17integral_constantIiLi128EEEEEELb0EEENSF_INS2A_IiLi2EEEEEEEENS5_IJSU_SV_SW_SX_SY_SZ_S10_S11_S12_S13_S14_S15_S16_S17_S18_S19_S1A_NST_IJLi23EEEES1J_NST_IJLi24EEEEEEENS5_IJS1C_S10_S11_S12_S13_S14_S1D_S1E_S1F_S1G_S1H_S17_S18_S1A_S19_S1I_S1J_NST_IJLi26EEEENST_IJLi27ELi28EEEENST_IJLi29EEEEEEENST_IJLi26ELi27ELi28ELi29EEEElEENSB_INS5_IJSR_SP_SP_SR_SG_SG_S2D_S2F_EEENS5_IJSU_SV_SW_SY_SX_SZ_S11_S10_EEENS5_IJS1P_SX_SY_S1Q_S11_S12_NST_IJLi9ELi10EEEES1D_EEENST_IJLi8ELi9ELi10ELi11EEEElEENS5_IJNSB_INS5_IJSK_SP_SP_NSQ_INS5_IJiS2E_NS2A_IiLi64EEEEEELb0EEES2Y_EEENS5_IJSU_SV_SW_SX_SY_EEENS5_IJS1P_SX_SY_NST_IJLi5ELi6ELi7EEEENST_IJLi8ELi9ELi10EEEEEEENST_IJLi5ELi6ELi7ELi8ELi9ELi10EEEElEEEEES35_NS_31BlockToCTileMap_M00_N00_M01_N01ILi128ELi128ES1Y_Lb0EEENS1_30ComputePtrOffsetOfStridedBatchILi1ELi1ELi1EvEELb1ELb1EEEvPKT0_S3D_T1_PT2_T3_T4_T5_iT6_T7_T8_T9_T10_T11_.has_indirect_call, 0
	.section	.AMDGPU.csdata,"",@progbits
; Kernel info:
; codeLenInByte = 44288
; TotalNumSgprs: 88
; NumVgprs: 128
; ScratchSize: 164
; MemoryBound: 0
; FloatMode: 240
; IeeeMode: 1
; LDSByteSize: 32768 bytes/workgroup (compile time only)
; SGPRBlocks: 12
; VGPRBlocks: 31
; NumSGPRsForWavesPerEU: 102
; NumVGPRsForWavesPerEU: 128
; Occupancy: 2
; WaveLimiterHint : 0
; COMPUTE_PGM_RSRC2:SCRATCH_EN: 1
; COMPUTE_PGM_RSRC2:USER_SGPR: 6
; COMPUTE_PGM_RSRC2:TRAP_HANDLER: 0
; COMPUTE_PGM_RSRC2:TGID_X_EN: 1
; COMPUTE_PGM_RSRC2:TGID_Y_EN: 0
; COMPUTE_PGM_RSRC2:TGID_Z_EN: 0
; COMPUTE_PGM_RSRC2:TIDIG_COMP_CNT: 0
	.section	.text._ZN2ck16tensor_operation6device12_GLOBAL__N_137kernel_grouped_conv_fwd_dl_multiple_dINS_32GridwiseGemmDlMultipleD_km_kn_mnILi256EDF16_fNS_5TupleIJDF16_EEEDF16_NS0_12element_wise11PassThroughES8_NS7_7AddReluELNS_25InMemoryDataOperationEnumE0ENS_16TensorDescriptorINS5_IJNS_5EmbedINS5_IJiiiiiEEESD_Lb0EEENS_11PassThroughIiEENS_3PadIiiiLb0EEESI_SI_SG_SG_NSC_INS5_IJiiEEESJ_Lb0EEESK_SK_SG_NS_23Merge_v2_magic_divisionINS5_IJiiiiEEEEESN_NS_8RightPadIiiLb0EEESP_NS_7UnMergeISJ_Lb0EEESG_EEENS5_IJNS_8SequenceIJLi0EEEENST_IJLi1EEEENST_IJLi2EEEENST_IJLi3EEEENST_IJLi4EEEENST_IJLi5EEEENST_IJLi6EEEENST_IJLi7EEEENST_IJLi8EEEENST_IJLi9EEEENST_IJLi10EEEENST_IJLi11ELi13ELi15ELi17EEEENST_IJLi12ELi14ELi16ELi18EEEENST_IJLi19EEEENST_IJLi20EEEENST_IJLi22EEEENST_IJLi21EEEEEEENS5_IJNST_IJLi1ELi2ELi3ELi4ELi5EEEES10_S11_S12_S13_S14_NST_IJLi11EEEENST_IJLi12ELi13EEEENST_IJLi14ELi15EEEENST_IJLi16ELi17EEEENST_IJLi18EEEES17_S18_S1A_S19_NST_IJLi23ELi24EEEENST_IJLi25EEEEEEENST_IJLi23ELi25ELi24EEEElEENSB_INS5_IJSR_SP_SP_SR_SG_EEENS5_IJSU_SV_SW_SY_SX_EEENS5_IJNST_IJLi1ELi2EEEESX_SY_NST_IJLi5ELi6EEEES11_EEENST_IJLi5ELi7ELi6EEEElEENSB_INS5_IJSK_SP_SP_EEENS5_IJSU_SV_SW_EEENS5_IJS1P_SX_SY_EEENST_IJLi3ELi4EEEElEELi128ELi128ELi16ELi2ELi4ELi4ELi1ENST_IJLi8ELi2EEEES1Z_NST_IJLi8ELi1ELi1ELi2EEEENST_IJLi2ELi1ELi128ELi1EEEENST_IJLi1ELi2ELi0ELi3EEEES22_NST_IJLi4ELi1ELi1ELi2EEEES22_NST_IJLi1ELi1ELi1ELi2EEEES20_S21_S22_S22_S23_S22_S24_NST_IJLi0ELi1ELi2ELi3ELi4ELi5EEEELi5ELi4EEEDF16_NS5_IJPKDF16_EEEDF16_S8_S8_S9_NSB_INS5_IJSE_SG_SI_SI_SI_SG_SG_SK_SK_SK_SG_SN_SN_SP_SP_SR_SG_SG_NSQ_INS5_IJiNS_17integral_constantIiLi128EEEEEELb0EEENSF_INS2A_IiLi2EEEEEEEENS5_IJSU_SV_SW_SX_SY_SZ_S10_S11_S12_S13_S14_S15_S16_S17_S18_S19_S1A_NST_IJLi23EEEES1J_NST_IJLi24EEEEEEENS5_IJS1C_S10_S11_S12_S13_S14_S1D_S1E_S1F_S1G_S1H_S17_S18_S1A_S19_S1I_S1J_NST_IJLi26EEEENST_IJLi27ELi28EEEENST_IJLi29EEEEEEENST_IJLi26ELi27ELi28ELi29EEEElEENSB_INS5_IJSR_SP_SP_SR_SG_SG_S2D_S2F_EEENS5_IJSU_SV_SW_SY_SX_SZ_S11_S10_EEENS5_IJS1P_SX_SY_S1Q_S11_S12_NST_IJLi9ELi10EEEES1D_EEENST_IJLi8ELi9ELi10ELi11EEEElEENS5_IJNSB_INS5_IJSK_SP_SP_NSQ_INS5_IJiS2E_NS2A_IiLi64EEEEEELb0EEES2Y_EEENS5_IJSU_SV_SW_SX_SY_EEENS5_IJS1P_SX_SY_NST_IJLi5ELi6ELi7EEEENST_IJLi8ELi9ELi10EEEEEEENST_IJLi5ELi6ELi7ELi8ELi9ELi10EEEElEEEEES35_NS_31BlockToCTileMap_M00_N00_M01_N01ILi128ELi128ES1Y_Lb0EEENS1_30ComputePtrOffsetOfStridedBatchILi1ELi1ELi1EvEELb1ELb0EEEvPKT0_S3D_T1_PT2_T3_T4_T5_iT6_T7_T8_T9_T10_T11_,"axG",@progbits,_ZN2ck16tensor_operation6device12_GLOBAL__N_137kernel_grouped_conv_fwd_dl_multiple_dINS_32GridwiseGemmDlMultipleD_km_kn_mnILi256EDF16_fNS_5TupleIJDF16_EEEDF16_NS0_12element_wise11PassThroughES8_NS7_7AddReluELNS_25InMemoryDataOperationEnumE0ENS_16TensorDescriptorINS5_IJNS_5EmbedINS5_IJiiiiiEEESD_Lb0EEENS_11PassThroughIiEENS_3PadIiiiLb0EEESI_SI_SG_SG_NSC_INS5_IJiiEEESJ_Lb0EEESK_SK_SG_NS_23Merge_v2_magic_divisionINS5_IJiiiiEEEEESN_NS_8RightPadIiiLb0EEESP_NS_7UnMergeISJ_Lb0EEESG_EEENS5_IJNS_8SequenceIJLi0EEEENST_IJLi1EEEENST_IJLi2EEEENST_IJLi3EEEENST_IJLi4EEEENST_IJLi5EEEENST_IJLi6EEEENST_IJLi7EEEENST_IJLi8EEEENST_IJLi9EEEENST_IJLi10EEEENST_IJLi11ELi13ELi15ELi17EEEENST_IJLi12ELi14ELi16ELi18EEEENST_IJLi19EEEENST_IJLi20EEEENST_IJLi22EEEENST_IJLi21EEEEEEENS5_IJNST_IJLi1ELi2ELi3ELi4ELi5EEEES10_S11_S12_S13_S14_NST_IJLi11EEEENST_IJLi12ELi13EEEENST_IJLi14ELi15EEEENST_IJLi16ELi17EEEENST_IJLi18EEEES17_S18_S1A_S19_NST_IJLi23ELi24EEEENST_IJLi25EEEEEEENST_IJLi23ELi25ELi24EEEElEENSB_INS5_IJSR_SP_SP_SR_SG_EEENS5_IJSU_SV_SW_SY_SX_EEENS5_IJNST_IJLi1ELi2EEEESX_SY_NST_IJLi5ELi6EEEES11_EEENST_IJLi5ELi7ELi6EEEElEENSB_INS5_IJSK_SP_SP_EEENS5_IJSU_SV_SW_EEENS5_IJS1P_SX_SY_EEENST_IJLi3ELi4EEEElEELi128ELi128ELi16ELi2ELi4ELi4ELi1ENST_IJLi8ELi2EEEES1Z_NST_IJLi8ELi1ELi1ELi2EEEENST_IJLi2ELi1ELi128ELi1EEEENST_IJLi1ELi2ELi0ELi3EEEES22_NST_IJLi4ELi1ELi1ELi2EEEES22_NST_IJLi1ELi1ELi1ELi2EEEES20_S21_S22_S22_S23_S22_S24_NST_IJLi0ELi1ELi2ELi3ELi4ELi5EEEELi5ELi4EEEDF16_NS5_IJPKDF16_EEEDF16_S8_S8_S9_NSB_INS5_IJSE_SG_SI_SI_SI_SG_SG_SK_SK_SK_SG_SN_SN_SP_SP_SR_SG_SG_NSQ_INS5_IJiNS_17integral_constantIiLi128EEEEEELb0EEENSF_INS2A_IiLi2EEEEEEEENS5_IJSU_SV_SW_SX_SY_SZ_S10_S11_S12_S13_S14_S15_S16_S17_S18_S19_S1A_NST_IJLi23EEEES1J_NST_IJLi24EEEEEEENS5_IJS1C_S10_S11_S12_S13_S14_S1D_S1E_S1F_S1G_S1H_S17_S18_S1A_S19_S1I_S1J_NST_IJLi26EEEENST_IJLi27ELi28EEEENST_IJLi29EEEEEEENST_IJLi26ELi27ELi28ELi29EEEElEENSB_INS5_IJSR_SP_SP_SR_SG_SG_S2D_S2F_EEENS5_IJSU_SV_SW_SY_SX_SZ_S11_S10_EEENS5_IJS1P_SX_SY_S1Q_S11_S12_NST_IJLi9ELi10EEEES1D_EEENST_IJLi8ELi9ELi10ELi11EEEElEENS5_IJNSB_INS5_IJSK_SP_SP_NSQ_INS5_IJiS2E_NS2A_IiLi64EEEEEELb0EEES2Y_EEENS5_IJSU_SV_SW_SX_SY_EEENS5_IJS1P_SX_SY_NST_IJLi5ELi6ELi7EEEENST_IJLi8ELi9ELi10EEEEEEENST_IJLi5ELi6ELi7ELi8ELi9ELi10EEEElEEEEES35_NS_31BlockToCTileMap_M00_N00_M01_N01ILi128ELi128ES1Y_Lb0EEENS1_30ComputePtrOffsetOfStridedBatchILi1ELi1ELi1EvEELb1ELb0EEEvPKT0_S3D_T1_PT2_T3_T4_T5_iT6_T7_T8_T9_T10_T11_,comdat
	.globl	_ZN2ck16tensor_operation6device12_GLOBAL__N_137kernel_grouped_conv_fwd_dl_multiple_dINS_32GridwiseGemmDlMultipleD_km_kn_mnILi256EDF16_fNS_5TupleIJDF16_EEEDF16_NS0_12element_wise11PassThroughES8_NS7_7AddReluELNS_25InMemoryDataOperationEnumE0ENS_16TensorDescriptorINS5_IJNS_5EmbedINS5_IJiiiiiEEESD_Lb0EEENS_11PassThroughIiEENS_3PadIiiiLb0EEESI_SI_SG_SG_NSC_INS5_IJiiEEESJ_Lb0EEESK_SK_SG_NS_23Merge_v2_magic_divisionINS5_IJiiiiEEEEESN_NS_8RightPadIiiLb0EEESP_NS_7UnMergeISJ_Lb0EEESG_EEENS5_IJNS_8SequenceIJLi0EEEENST_IJLi1EEEENST_IJLi2EEEENST_IJLi3EEEENST_IJLi4EEEENST_IJLi5EEEENST_IJLi6EEEENST_IJLi7EEEENST_IJLi8EEEENST_IJLi9EEEENST_IJLi10EEEENST_IJLi11ELi13ELi15ELi17EEEENST_IJLi12ELi14ELi16ELi18EEEENST_IJLi19EEEENST_IJLi20EEEENST_IJLi22EEEENST_IJLi21EEEEEEENS5_IJNST_IJLi1ELi2ELi3ELi4ELi5EEEES10_S11_S12_S13_S14_NST_IJLi11EEEENST_IJLi12ELi13EEEENST_IJLi14ELi15EEEENST_IJLi16ELi17EEEENST_IJLi18EEEES17_S18_S1A_S19_NST_IJLi23ELi24EEEENST_IJLi25EEEEEEENST_IJLi23ELi25ELi24EEEElEENSB_INS5_IJSR_SP_SP_SR_SG_EEENS5_IJSU_SV_SW_SY_SX_EEENS5_IJNST_IJLi1ELi2EEEESX_SY_NST_IJLi5ELi6EEEES11_EEENST_IJLi5ELi7ELi6EEEElEENSB_INS5_IJSK_SP_SP_EEENS5_IJSU_SV_SW_EEENS5_IJS1P_SX_SY_EEENST_IJLi3ELi4EEEElEELi128ELi128ELi16ELi2ELi4ELi4ELi1ENST_IJLi8ELi2EEEES1Z_NST_IJLi8ELi1ELi1ELi2EEEENST_IJLi2ELi1ELi128ELi1EEEENST_IJLi1ELi2ELi0ELi3EEEES22_NST_IJLi4ELi1ELi1ELi2EEEES22_NST_IJLi1ELi1ELi1ELi2EEEES20_S21_S22_S22_S23_S22_S24_NST_IJLi0ELi1ELi2ELi3ELi4ELi5EEEELi5ELi4EEEDF16_NS5_IJPKDF16_EEEDF16_S8_S8_S9_NSB_INS5_IJSE_SG_SI_SI_SI_SG_SG_SK_SK_SK_SG_SN_SN_SP_SP_SR_SG_SG_NSQ_INS5_IJiNS_17integral_constantIiLi128EEEEEELb0EEENSF_INS2A_IiLi2EEEEEEEENS5_IJSU_SV_SW_SX_SY_SZ_S10_S11_S12_S13_S14_S15_S16_S17_S18_S19_S1A_NST_IJLi23EEEES1J_NST_IJLi24EEEEEEENS5_IJS1C_S10_S11_S12_S13_S14_S1D_S1E_S1F_S1G_S1H_S17_S18_S1A_S19_S1I_S1J_NST_IJLi26EEEENST_IJLi27ELi28EEEENST_IJLi29EEEEEEENST_IJLi26ELi27ELi28ELi29EEEElEENSB_INS5_IJSR_SP_SP_SR_SG_SG_S2D_S2F_EEENS5_IJSU_SV_SW_SY_SX_SZ_S11_S10_EEENS5_IJS1P_SX_SY_S1Q_S11_S12_NST_IJLi9ELi10EEEES1D_EEENST_IJLi8ELi9ELi10ELi11EEEElEENS5_IJNSB_INS5_IJSK_SP_SP_NSQ_INS5_IJiS2E_NS2A_IiLi64EEEEEELb0EEES2Y_EEENS5_IJSU_SV_SW_SX_SY_EEENS5_IJS1P_SX_SY_NST_IJLi5ELi6ELi7EEEENST_IJLi8ELi9ELi10EEEEEEENST_IJLi5ELi6ELi7ELi8ELi9ELi10EEEElEEEEES35_NS_31BlockToCTileMap_M00_N00_M01_N01ILi128ELi128ES1Y_Lb0EEENS1_30ComputePtrOffsetOfStridedBatchILi1ELi1ELi1EvEELb1ELb0EEEvPKT0_S3D_T1_PT2_T3_T4_T5_iT6_T7_T8_T9_T10_T11_ ; -- Begin function _ZN2ck16tensor_operation6device12_GLOBAL__N_137kernel_grouped_conv_fwd_dl_multiple_dINS_32GridwiseGemmDlMultipleD_km_kn_mnILi256EDF16_fNS_5TupleIJDF16_EEEDF16_NS0_12element_wise11PassThroughES8_NS7_7AddReluELNS_25InMemoryDataOperationEnumE0ENS_16TensorDescriptorINS5_IJNS_5EmbedINS5_IJiiiiiEEESD_Lb0EEENS_11PassThroughIiEENS_3PadIiiiLb0EEESI_SI_SG_SG_NSC_INS5_IJiiEEESJ_Lb0EEESK_SK_SG_NS_23Merge_v2_magic_divisionINS5_IJiiiiEEEEESN_NS_8RightPadIiiLb0EEESP_NS_7UnMergeISJ_Lb0EEESG_EEENS5_IJNS_8SequenceIJLi0EEEENST_IJLi1EEEENST_IJLi2EEEENST_IJLi3EEEENST_IJLi4EEEENST_IJLi5EEEENST_IJLi6EEEENST_IJLi7EEEENST_IJLi8EEEENST_IJLi9EEEENST_IJLi10EEEENST_IJLi11ELi13ELi15ELi17EEEENST_IJLi12ELi14ELi16ELi18EEEENST_IJLi19EEEENST_IJLi20EEEENST_IJLi22EEEENST_IJLi21EEEEEEENS5_IJNST_IJLi1ELi2ELi3ELi4ELi5EEEES10_S11_S12_S13_S14_NST_IJLi11EEEENST_IJLi12ELi13EEEENST_IJLi14ELi15EEEENST_IJLi16ELi17EEEENST_IJLi18EEEES17_S18_S1A_S19_NST_IJLi23ELi24EEEENST_IJLi25EEEEEEENST_IJLi23ELi25ELi24EEEElEENSB_INS5_IJSR_SP_SP_SR_SG_EEENS5_IJSU_SV_SW_SY_SX_EEENS5_IJNST_IJLi1ELi2EEEESX_SY_NST_IJLi5ELi6EEEES11_EEENST_IJLi5ELi7ELi6EEEElEENSB_INS5_IJSK_SP_SP_EEENS5_IJSU_SV_SW_EEENS5_IJS1P_SX_SY_EEENST_IJLi3ELi4EEEElEELi128ELi128ELi16ELi2ELi4ELi4ELi1ENST_IJLi8ELi2EEEES1Z_NST_IJLi8ELi1ELi1ELi2EEEENST_IJLi2ELi1ELi128ELi1EEEENST_IJLi1ELi2ELi0ELi3EEEES22_NST_IJLi4ELi1ELi1ELi2EEEES22_NST_IJLi1ELi1ELi1ELi2EEEES20_S21_S22_S22_S23_S22_S24_NST_IJLi0ELi1ELi2ELi3ELi4ELi5EEEELi5ELi4EEEDF16_NS5_IJPKDF16_EEEDF16_S8_S8_S9_NSB_INS5_IJSE_SG_SI_SI_SI_SG_SG_SK_SK_SK_SG_SN_SN_SP_SP_SR_SG_SG_NSQ_INS5_IJiNS_17integral_constantIiLi128EEEEEELb0EEENSF_INS2A_IiLi2EEEEEEEENS5_IJSU_SV_SW_SX_SY_SZ_S10_S11_S12_S13_S14_S15_S16_S17_S18_S19_S1A_NST_IJLi23EEEES1J_NST_IJLi24EEEEEEENS5_IJS1C_S10_S11_S12_S13_S14_S1D_S1E_S1F_S1G_S1H_S17_S18_S1A_S19_S1I_S1J_NST_IJLi26EEEENST_IJLi27ELi28EEEENST_IJLi29EEEEEEENST_IJLi26ELi27ELi28ELi29EEEElEENSB_INS5_IJSR_SP_SP_SR_SG_SG_S2D_S2F_EEENS5_IJSU_SV_SW_SY_SX_SZ_S11_S10_EEENS5_IJS1P_SX_SY_S1Q_S11_S12_NST_IJLi9ELi10EEEES1D_EEENST_IJLi8ELi9ELi10ELi11EEEElEENS5_IJNSB_INS5_IJSK_SP_SP_NSQ_INS5_IJiS2E_NS2A_IiLi64EEEEEELb0EEES2Y_EEENS5_IJSU_SV_SW_SX_SY_EEENS5_IJS1P_SX_SY_NST_IJLi5ELi6ELi7EEEENST_IJLi8ELi9ELi10EEEEEEENST_IJLi5ELi6ELi7ELi8ELi9ELi10EEEElEEEEES35_NS_31BlockToCTileMap_M00_N00_M01_N01ILi128ELi128ES1Y_Lb0EEENS1_30ComputePtrOffsetOfStridedBatchILi1ELi1ELi1EvEELb1ELb0EEEvPKT0_S3D_T1_PT2_T3_T4_T5_iT6_T7_T8_T9_T10_T11_
	.p2align	8
	.type	_ZN2ck16tensor_operation6device12_GLOBAL__N_137kernel_grouped_conv_fwd_dl_multiple_dINS_32GridwiseGemmDlMultipleD_km_kn_mnILi256EDF16_fNS_5TupleIJDF16_EEEDF16_NS0_12element_wise11PassThroughES8_NS7_7AddReluELNS_25InMemoryDataOperationEnumE0ENS_16TensorDescriptorINS5_IJNS_5EmbedINS5_IJiiiiiEEESD_Lb0EEENS_11PassThroughIiEENS_3PadIiiiLb0EEESI_SI_SG_SG_NSC_INS5_IJiiEEESJ_Lb0EEESK_SK_SG_NS_23Merge_v2_magic_divisionINS5_IJiiiiEEEEESN_NS_8RightPadIiiLb0EEESP_NS_7UnMergeISJ_Lb0EEESG_EEENS5_IJNS_8SequenceIJLi0EEEENST_IJLi1EEEENST_IJLi2EEEENST_IJLi3EEEENST_IJLi4EEEENST_IJLi5EEEENST_IJLi6EEEENST_IJLi7EEEENST_IJLi8EEEENST_IJLi9EEEENST_IJLi10EEEENST_IJLi11ELi13ELi15ELi17EEEENST_IJLi12ELi14ELi16ELi18EEEENST_IJLi19EEEENST_IJLi20EEEENST_IJLi22EEEENST_IJLi21EEEEEEENS5_IJNST_IJLi1ELi2ELi3ELi4ELi5EEEES10_S11_S12_S13_S14_NST_IJLi11EEEENST_IJLi12ELi13EEEENST_IJLi14ELi15EEEENST_IJLi16ELi17EEEENST_IJLi18EEEES17_S18_S1A_S19_NST_IJLi23ELi24EEEENST_IJLi25EEEEEEENST_IJLi23ELi25ELi24EEEElEENSB_INS5_IJSR_SP_SP_SR_SG_EEENS5_IJSU_SV_SW_SY_SX_EEENS5_IJNST_IJLi1ELi2EEEESX_SY_NST_IJLi5ELi6EEEES11_EEENST_IJLi5ELi7ELi6EEEElEENSB_INS5_IJSK_SP_SP_EEENS5_IJSU_SV_SW_EEENS5_IJS1P_SX_SY_EEENST_IJLi3ELi4EEEElEELi128ELi128ELi16ELi2ELi4ELi4ELi1ENST_IJLi8ELi2EEEES1Z_NST_IJLi8ELi1ELi1ELi2EEEENST_IJLi2ELi1ELi128ELi1EEEENST_IJLi1ELi2ELi0ELi3EEEES22_NST_IJLi4ELi1ELi1ELi2EEEES22_NST_IJLi1ELi1ELi1ELi2EEEES20_S21_S22_S22_S23_S22_S24_NST_IJLi0ELi1ELi2ELi3ELi4ELi5EEEELi5ELi4EEEDF16_NS5_IJPKDF16_EEEDF16_S8_S8_S9_NSB_INS5_IJSE_SG_SI_SI_SI_SG_SG_SK_SK_SK_SG_SN_SN_SP_SP_SR_SG_SG_NSQ_INS5_IJiNS_17integral_constantIiLi128EEEEEELb0EEENSF_INS2A_IiLi2EEEEEEEENS5_IJSU_SV_SW_SX_SY_SZ_S10_S11_S12_S13_S14_S15_S16_S17_S18_S19_S1A_NST_IJLi23EEEES1J_NST_IJLi24EEEEEEENS5_IJS1C_S10_S11_S12_S13_S14_S1D_S1E_S1F_S1G_S1H_S17_S18_S1A_S19_S1I_S1J_NST_IJLi26EEEENST_IJLi27ELi28EEEENST_IJLi29EEEEEEENST_IJLi26ELi27ELi28ELi29EEEElEENSB_INS5_IJSR_SP_SP_SR_SG_SG_S2D_S2F_EEENS5_IJSU_SV_SW_SY_SX_SZ_S11_S10_EEENS5_IJS1P_SX_SY_S1Q_S11_S12_NST_IJLi9ELi10EEEES1D_EEENST_IJLi8ELi9ELi10ELi11EEEElEENS5_IJNSB_INS5_IJSK_SP_SP_NSQ_INS5_IJiS2E_NS2A_IiLi64EEEEEELb0EEES2Y_EEENS5_IJSU_SV_SW_SX_SY_EEENS5_IJS1P_SX_SY_NST_IJLi5ELi6ELi7EEEENST_IJLi8ELi9ELi10EEEEEEENST_IJLi5ELi6ELi7ELi8ELi9ELi10EEEElEEEEES35_NS_31BlockToCTileMap_M00_N00_M01_N01ILi128ELi128ES1Y_Lb0EEENS1_30ComputePtrOffsetOfStridedBatchILi1ELi1ELi1EvEELb1ELb0EEEvPKT0_S3D_T1_PT2_T3_T4_T5_iT6_T7_T8_T9_T10_T11_,@function
_ZN2ck16tensor_operation6device12_GLOBAL__N_137kernel_grouped_conv_fwd_dl_multiple_dINS_32GridwiseGemmDlMultipleD_km_kn_mnILi256EDF16_fNS_5TupleIJDF16_EEEDF16_NS0_12element_wise11PassThroughES8_NS7_7AddReluELNS_25InMemoryDataOperationEnumE0ENS_16TensorDescriptorINS5_IJNS_5EmbedINS5_IJiiiiiEEESD_Lb0EEENS_11PassThroughIiEENS_3PadIiiiLb0EEESI_SI_SG_SG_NSC_INS5_IJiiEEESJ_Lb0EEESK_SK_SG_NS_23Merge_v2_magic_divisionINS5_IJiiiiEEEEESN_NS_8RightPadIiiLb0EEESP_NS_7UnMergeISJ_Lb0EEESG_EEENS5_IJNS_8SequenceIJLi0EEEENST_IJLi1EEEENST_IJLi2EEEENST_IJLi3EEEENST_IJLi4EEEENST_IJLi5EEEENST_IJLi6EEEENST_IJLi7EEEENST_IJLi8EEEENST_IJLi9EEEENST_IJLi10EEEENST_IJLi11ELi13ELi15ELi17EEEENST_IJLi12ELi14ELi16ELi18EEEENST_IJLi19EEEENST_IJLi20EEEENST_IJLi22EEEENST_IJLi21EEEEEEENS5_IJNST_IJLi1ELi2ELi3ELi4ELi5EEEES10_S11_S12_S13_S14_NST_IJLi11EEEENST_IJLi12ELi13EEEENST_IJLi14ELi15EEEENST_IJLi16ELi17EEEENST_IJLi18EEEES17_S18_S1A_S19_NST_IJLi23ELi24EEEENST_IJLi25EEEEEEENST_IJLi23ELi25ELi24EEEElEENSB_INS5_IJSR_SP_SP_SR_SG_EEENS5_IJSU_SV_SW_SY_SX_EEENS5_IJNST_IJLi1ELi2EEEESX_SY_NST_IJLi5ELi6EEEES11_EEENST_IJLi5ELi7ELi6EEEElEENSB_INS5_IJSK_SP_SP_EEENS5_IJSU_SV_SW_EEENS5_IJS1P_SX_SY_EEENST_IJLi3ELi4EEEElEELi128ELi128ELi16ELi2ELi4ELi4ELi1ENST_IJLi8ELi2EEEES1Z_NST_IJLi8ELi1ELi1ELi2EEEENST_IJLi2ELi1ELi128ELi1EEEENST_IJLi1ELi2ELi0ELi3EEEES22_NST_IJLi4ELi1ELi1ELi2EEEES22_NST_IJLi1ELi1ELi1ELi2EEEES20_S21_S22_S22_S23_S22_S24_NST_IJLi0ELi1ELi2ELi3ELi4ELi5EEEELi5ELi4EEEDF16_NS5_IJPKDF16_EEEDF16_S8_S8_S9_NSB_INS5_IJSE_SG_SI_SI_SI_SG_SG_SK_SK_SK_SG_SN_SN_SP_SP_SR_SG_SG_NSQ_INS5_IJiNS_17integral_constantIiLi128EEEEEELb0EEENSF_INS2A_IiLi2EEEEEEEENS5_IJSU_SV_SW_SX_SY_SZ_S10_S11_S12_S13_S14_S15_S16_S17_S18_S19_S1A_NST_IJLi23EEEES1J_NST_IJLi24EEEEEEENS5_IJS1C_S10_S11_S12_S13_S14_S1D_S1E_S1F_S1G_S1H_S17_S18_S1A_S19_S1I_S1J_NST_IJLi26EEEENST_IJLi27ELi28EEEENST_IJLi29EEEEEEENST_IJLi26ELi27ELi28ELi29EEEElEENSB_INS5_IJSR_SP_SP_SR_SG_SG_S2D_S2F_EEENS5_IJSU_SV_SW_SY_SX_SZ_S11_S10_EEENS5_IJS1P_SX_SY_S1Q_S11_S12_NST_IJLi9ELi10EEEES1D_EEENST_IJLi8ELi9ELi10ELi11EEEElEENS5_IJNSB_INS5_IJSK_SP_SP_NSQ_INS5_IJiS2E_NS2A_IiLi64EEEEEELb0EEES2Y_EEENS5_IJSU_SV_SW_SX_SY_EEENS5_IJS1P_SX_SY_NST_IJLi5ELi6ELi7EEEENST_IJLi8ELi9ELi10EEEEEEENST_IJLi5ELi6ELi7ELi8ELi9ELi10EEEElEEEEES35_NS_31BlockToCTileMap_M00_N00_M01_N01ILi128ELi128ES1Y_Lb0EEENS1_30ComputePtrOffsetOfStridedBatchILi1ELi1ELi1EvEELb1ELb0EEEvPKT0_S3D_T1_PT2_T3_T4_T5_iT6_T7_T8_T9_T10_T11_: ; @_ZN2ck16tensor_operation6device12_GLOBAL__N_137kernel_grouped_conv_fwd_dl_multiple_dINS_32GridwiseGemmDlMultipleD_km_kn_mnILi256EDF16_fNS_5TupleIJDF16_EEEDF16_NS0_12element_wise11PassThroughES8_NS7_7AddReluELNS_25InMemoryDataOperationEnumE0ENS_16TensorDescriptorINS5_IJNS_5EmbedINS5_IJiiiiiEEESD_Lb0EEENS_11PassThroughIiEENS_3PadIiiiLb0EEESI_SI_SG_SG_NSC_INS5_IJiiEEESJ_Lb0EEESK_SK_SG_NS_23Merge_v2_magic_divisionINS5_IJiiiiEEEEESN_NS_8RightPadIiiLb0EEESP_NS_7UnMergeISJ_Lb0EEESG_EEENS5_IJNS_8SequenceIJLi0EEEENST_IJLi1EEEENST_IJLi2EEEENST_IJLi3EEEENST_IJLi4EEEENST_IJLi5EEEENST_IJLi6EEEENST_IJLi7EEEENST_IJLi8EEEENST_IJLi9EEEENST_IJLi10EEEENST_IJLi11ELi13ELi15ELi17EEEENST_IJLi12ELi14ELi16ELi18EEEENST_IJLi19EEEENST_IJLi20EEEENST_IJLi22EEEENST_IJLi21EEEEEEENS5_IJNST_IJLi1ELi2ELi3ELi4ELi5EEEES10_S11_S12_S13_S14_NST_IJLi11EEEENST_IJLi12ELi13EEEENST_IJLi14ELi15EEEENST_IJLi16ELi17EEEENST_IJLi18EEEES17_S18_S1A_S19_NST_IJLi23ELi24EEEENST_IJLi25EEEEEEENST_IJLi23ELi25ELi24EEEElEENSB_INS5_IJSR_SP_SP_SR_SG_EEENS5_IJSU_SV_SW_SY_SX_EEENS5_IJNST_IJLi1ELi2EEEESX_SY_NST_IJLi5ELi6EEEES11_EEENST_IJLi5ELi7ELi6EEEElEENSB_INS5_IJSK_SP_SP_EEENS5_IJSU_SV_SW_EEENS5_IJS1P_SX_SY_EEENST_IJLi3ELi4EEEElEELi128ELi128ELi16ELi2ELi4ELi4ELi1ENST_IJLi8ELi2EEEES1Z_NST_IJLi8ELi1ELi1ELi2EEEENST_IJLi2ELi1ELi128ELi1EEEENST_IJLi1ELi2ELi0ELi3EEEES22_NST_IJLi4ELi1ELi1ELi2EEEES22_NST_IJLi1ELi1ELi1ELi2EEEES20_S21_S22_S22_S23_S22_S24_NST_IJLi0ELi1ELi2ELi3ELi4ELi5EEEELi5ELi4EEEDF16_NS5_IJPKDF16_EEEDF16_S8_S8_S9_NSB_INS5_IJSE_SG_SI_SI_SI_SG_SG_SK_SK_SK_SG_SN_SN_SP_SP_SR_SG_SG_NSQ_INS5_IJiNS_17integral_constantIiLi128EEEEEELb0EEENSF_INS2A_IiLi2EEEEEEEENS5_IJSU_SV_SW_SX_SY_SZ_S10_S11_S12_S13_S14_S15_S16_S17_S18_S19_S1A_NST_IJLi23EEEES1J_NST_IJLi24EEEEEEENS5_IJS1C_S10_S11_S12_S13_S14_S1D_S1E_S1F_S1G_S1H_S17_S18_S1A_S19_S1I_S1J_NST_IJLi26EEEENST_IJLi27ELi28EEEENST_IJLi29EEEEEEENST_IJLi26ELi27ELi28ELi29EEEElEENSB_INS5_IJSR_SP_SP_SR_SG_SG_S2D_S2F_EEENS5_IJSU_SV_SW_SY_SX_SZ_S11_S10_EEENS5_IJS1P_SX_SY_S1Q_S11_S12_NST_IJLi9ELi10EEEES1D_EEENST_IJLi8ELi9ELi10ELi11EEEElEENS5_IJNSB_INS5_IJSK_SP_SP_NSQ_INS5_IJiS2E_NS2A_IiLi64EEEEEELb0EEES2Y_EEENS5_IJSU_SV_SW_SX_SY_EEENS5_IJS1P_SX_SY_NST_IJLi5ELi6ELi7EEEENST_IJLi8ELi9ELi10EEEEEEENST_IJLi5ELi6ELi7ELi8ELi9ELi10EEEElEEEEES35_NS_31BlockToCTileMap_M00_N00_M01_N01ILi128ELi128ES1Y_Lb0EEENS1_30ComputePtrOffsetOfStridedBatchILi1ELi1ELi1EvEELb1ELb0EEEvPKT0_S3D_T1_PT2_T3_T4_T5_iT6_T7_T8_T9_T10_T11_
; %bb.0:
	s_mov_b64 s[86:87], s[2:3]
	s_mov_b64 s[84:85], s[0:1]
	s_add_u32 s84, s84, s7
	s_load_dwordx4 s[40:43], s[4:5], 0x0
	s_load_dwordx2 s[72:73], s[4:5], 0x18
	s_load_dword s7, s[4:5], 0x24
	s_load_dwordx4 s[36:39], s[4:5], 0x3c
	s_load_dword s80, s[4:5], 0x4c
	s_load_dword s81, s[4:5], 0x58
	s_load_dwordx4 s[52:55], s[4:5], 0x54
	s_addc_u32 s85, s85, 0
	s_waitcnt lgkmcnt(0)
	s_abs_i32 s9, s7
	v_cvt_f32_u32_e32 v1, s9
	s_load_dword s53, s[4:5], 0x64
	s_load_dwordx4 s[56:59], s[4:5], 0x60
	s_load_dword s55, s[4:5], 0x70
	s_load_dwordx4 s[60:63], s[4:5], 0x6c
	s_load_dword s8, s[4:5], 0x300
	s_load_dwordx2 s[74:75], s[4:5], 0x88
	s_load_dwordx2 s[76:77], s[4:5], 0x98
	;; [unrolled: 1-line block ×3, first 2 shown]
	s_load_dwordx8 s[24:31], s[4:5], 0xb8
	s_load_dwordx4 s[0:3], s[4:5], 0xd8
	v_rcp_iflag_f32_e32 v1, v1
	s_load_dwordx8 s[16:23], s[4:5], 0xec
	s_load_dwordx4 s[64:67], s[4:5], 0x298
	s_load_dwordx4 s[48:51], s[4:5], 0x2ac
	s_waitcnt lgkmcnt(0)
	s_xor_b32 s3, s8, s7
	s_abs_i32 s7, s8
	v_mul_f32_e32 v1, 0x4f7ffffe, v1
	v_cvt_u32_f32_e32 v1, v1
	s_sub_i32 s8, 0, s9
	s_ashr_i32 s3, s3, 31
	v_lshrrev_b32_e32 v24, 1, v0
	v_readfirstlane_b32 s10, v1
	s_mul_i32 s8, s8, s10
	s_mul_hi_u32 s8, s10, s8
	s_add_i32 s10, s10, s8
	s_mul_hi_u32 s8, s7, s10
	s_mul_i32 s10, s8, s9
	s_sub_i32 s7, s7, s10
	s_add_i32 s10, s8, 1
	s_sub_i32 s11, s7, s9
	s_cmp_ge_u32 s7, s9
	s_cselect_b32 s8, s10, s8
	s_cselect_b32 s7, s11, s7
	s_add_i32 s10, s8, 1
	s_cmp_ge_u32 s7, s9
	s_cselect_b32 s7, s10, s8
	s_xor_b32 s7, s7, s3
	s_sub_i32 s3, s7, s3
	s_abs_i32 s7, s3
	v_cvt_f32_u32_e32 v1, s7
	s_sub_i32 s23, 0, s7
	s_abs_i32 s19, s6
	s_xor_b32 s3, s6, s3
	v_rcp_iflag_f32_e32 v1, v1
	s_ashr_i32 s3, s3, 31
	s_load_dwordx4 s[68:71], s[4:5], 0x2c0
	s_load_dwordx8 s[8:15], s[4:5], 0x2d8
	s_load_dwordx2 s[34:35], s[4:5], 0x260
	v_mul_f32_e32 v1, 0x4f7ffffe, v1
	v_cvt_u32_f32_e32 v1, v1
	v_lshrrev_b32_e32 v31, 5, v0
	v_lshlrev_b32_e32 v38, 1, v0
	v_lshlrev_b32_e32 v32, 6, v31
	v_readfirstlane_b32 s27, v1
	s_mul_i32 s23, s23, s27
	s_mul_hi_u32 s23, s27, s23
	s_add_i32 s27, s27, s23
	s_mul_hi_u32 s23, s19, s27
	s_mul_i32 s27, s23, s7
	s_sub_i32 s19, s19, s27
	s_add_i32 s27, s23, 1
	s_sub_i32 s31, s19, s7
	s_cmp_ge_u32 s19, s7
	s_cselect_b32 s23, s27, s23
	s_cselect_b32 s19, s31, s19
	s_add_i32 s27, s23, 1
	s_cmp_ge_u32 s19, s7
	s_cselect_b32 s7, s27, s23
	s_xor_b32 s7, s7, s3
	s_sub_i32 s57, s7, s3
	s_ashr_i32 s59, s57, 31
	s_waitcnt lgkmcnt(0)
	s_mul_i32 s3, s8, s59
	s_mul_hi_u32 s7, s8, s57
	s_add_i32 s3, s7, s3
	s_mul_i32 s7, s9, s57
	s_add_i32 s9, s3, s7
	s_mul_i32 s3, s10, s59
	s_mul_hi_u32 s7, s10, s57
	s_mul_i32 s8, s8, s57
	s_add_i32 s3, s7, s3
	s_mul_i32 s7, s11, s57
	s_add_i32 s11, s3, s7
	s_lshl_b64 s[8:9], s[8:9], 1
	s_mul_i32 s10, s10, s57
	s_add_u32 s40, s40, s8
	s_addc_u32 s8, s41, s9
	s_lshl_b64 s[10:11], s[10:11], 1
	s_add_u32 s44, s42, s10
	s_mul_hi_u32 s3, s51, s6
	s_addc_u32 s7, s43, s11
	s_add_i32 s3, s6, s3
	s_lshr_b32 s10, s3, s71
	s_mul_hi_u32 s3, s10, s50
	s_add_i32 s3, s10, s3
	s_lshr_b32 s11, s3, s70
	s_mul_hi_u32 s3, s11, s49
	s_add_i32 s3, s11, s3
	s_lshr_b32 s19, s3, s69
	s_mul_hi_u32 s9, s19, s48
	s_load_dwordx4 s[48:51], s[4:5], 0x10c
	s_load_dword s3, s[4:5], 0x120
	s_waitcnt lgkmcnt(0)
	s_load_dword s51, s[4:5], 0x12c
	s_load_dword s63, s[4:5], 0x13c
	v_lshlrev_b32_e32 v1, 3, v0
	v_and_b32_e32 v1, 8, v1
	s_add_i32 s9, s19, s9
	s_lshr_b32 s23, s9, s68
	s_waitcnt lgkmcnt(0)
	v_mul_lo_u32 v2, s63, v1
	s_load_dword s9, s[4:5], 0x27c
	s_load_dword s27, s[4:5], 0x28c
	s_mul_i32 s31, s10, s67
	s_sub_i32 s33, s6, s31
	v_mul_hi_u32 v3, v2, s22
	s_mul_i32 s6, s11, s66
	s_mul_i32 s23, s23, s64
	s_sub_i32 s31, s10, s6
	v_add_u32_e32 v3, v2, v3
	v_lshrrev_b32_e32 v3, s50, v3
	v_mul_hi_u32 v4, v3, s21
	s_sub_i32 s10, s19, s23
	s_waitcnt lgkmcnt(0)
	s_mul_i32 s10, s10, s9
	s_add_i32 s31, s31, s10
	v_add_u32_e32 v4, v3, v4
	v_lshrrev_b32_e32 v4, s49, v4
	v_mul_lo_u32 v5, v4, s17
	v_lshl_or_b32 v25, s31, 7, v24
	v_mul_hi_u32 v6, v25, s30
	v_mul_lo_u32 v7, v3, s18
	v_sub_u32_e32 v8, v3, v5
	v_mul_hi_u32 v3, v4, s20
	v_add_u32_e32 v5, v25, v6
	v_lshrrev_b32_e32 v5, s2, v5
	v_mul_hi_u32 v6, v5, s29
	v_add_u32_e32 v3, v4, v3
	v_lshrrev_b32_e32 v9, s48, v3
	v_mul_lo_u32 v3, v9, s16
	v_add_u32_e32 v6, v5, v6
	v_lshrrev_b32_e32 v6, s1, v6
	v_mul_hi_u32 v10, v6, s28
	v_sub_u32_e32 v11, v4, v3
	v_mul_lo_u32 v3, v5, s26
	v_mul_lo_u32 v4, v6, s25
	v_add_u32_e32 v10, v6, v10
	v_lshrrev_b32_e32 v10, s0, v10
	v_sub_u32_e32 v13, v25, v3
	v_sub_u32_e32 v5, v5, v4
	v_mul_lo_u32 v3, v8, s78
	v_mul_lo_u32 v4, v11, s76
	;; [unrolled: 1-line block ×3, first 2 shown]
	v_sub_u32_e32 v7, v2, v7
	s_mul_i32 s6, s19, s65
	v_mad_u64_u32 v[15:16], s[0:1], v13, s79, v[3:4]
	v_mul_lo_u32 v3, v9, s74
	v_sub_u32_e32 v6, v6, v12
	v_mad_u64_u32 v[21:22], s[0:1], v5, s77, v[4:5]
	v_mad_u64_u32 v[22:23], s[0:1], v6, s75, v[3:4]
	v_subrev_u32_e32 v3, s55, v15
	v_subrev_u32_e32 v4, s53, v21
	;; [unrolled: 1-line block ×3, first 2 shown]
	v_mul_lo_u32 v6, v10, s36
	v_mul_lo_u32 v4, v4, s38
	;; [unrolled: 1-line block ×4, first 2 shown]
	v_or_b32_e32 v12, 4, v1
	v_mul_lo_u32 v5, v5, s37
	v_mul_lo_u32 v33, s63, v12
	v_add3_u32 v3, v3, v10, v4
	s_sub_i32 s6, s11, s6
	v_add3_u32 v10, v3, v6, v5
	v_mul_hi_u32 v3, v33, s22
	s_mul_i32 s6, s6, s27
	s_load_dword s0, s[4:5], 0x160
	s_load_dword s1, s[4:5], 0x170
	;; [unrolled: 1-line block ×6, first 2 shown]
	s_load_dwordx2 s[26:27], s[4:5], 0x1d0
	s_load_dword s64, s[4:5], 0x148
	s_waitcnt lgkmcnt(0)
	s_lshl_b32 s42, s0, 1
	v_add_u32_e32 v3, v33, v3
	v_lshrrev_b32_e32 v12, s50, v3
	v_mul_hi_u32 v3, v12, s21
	v_mul_lo_u32 v13, v12, s18
	s_and_b32 s41, s8, 0xffff
	s_mov_b32 s43, 0x20000
	v_add_u32_e32 v3, v12, v3
	v_lshrrev_b32_e32 v14, s49, v3
	v_mul_hi_u32 v17, v14, s20
	v_sub_u32_e32 v56, v33, v13
	v_mul_lo_u32 v13, v14, s17
	v_lshlrev_b32_e32 v4, 1, v10
	v_add_u32_e32 v17, v14, v17
	v_lshrrev_b32_e32 v34, s48, v17
	v_mul_lo_u32 v17, v34, s16
	v_sub_u32_e32 v35, v12, v13
	v_sub_u32_e32 v8, v35, v8
	;; [unrolled: 1-line block ×4, first 2 shown]
	v_mul_lo_u32 v26, v9, s74
	v_mul_lo_u32 v27, v8, s78
	v_sub_u32_e32 v8, v36, v11
	v_mul_lo_u32 v28, v8, s76
	buffer_load_dwordx4 v[3:6], v4, s[40:43], 0 offen
	v_sub_u32_e32 v7, v56, v7
	v_mul_lo_u32 v8, v26, s37
	v_mul_lo_u32 v9, v27, s39
	;; [unrolled: 1-line block ×3, first 2 shown]
	s_add_i32 s33, s33, s6
	v_mul_lo_u32 v11, v28, s38
	v_lshl_or_b32 v23, s33, 7, v24
	v_mul_lo_u32 v29, s61, v1
	v_mul_lo_u32 v30, v23, s1
	v_add3_u32 v7, v9, v7, v8
	v_add3_u32 v37, v7, v11, v10
	v_lshlrev_b32_e32 v7, 1, v37
	buffer_load_dwordx4 v[7:10], v7, s[40:43], 0 offen
	v_add_u32_e32 v17, v30, v29
	s_and_b32 s45, s7, 0xffff
	s_lshl_b32 s10, s2, 1
	s_mov_b32 s8, s44
	s_mov_b32 s9, s45
	;; [unrolled: 1-line block ×3, first 2 shown]
	v_lshlrev_b32_e32 v11, 1, v17
	buffer_load_dwordx4 v[11:14], v11, s[8:11], 0 offen
	s_lshl_b32 s65, s61, 2
	v_add_lshl_u32 v17, v17, s65, 1
	buffer_load_dwordx4 v[17:20], v17, s[8:11], 0 offen
	s_sub_i32 s36, s60, s62
	v_cmp_gt_i32_e64 s[0:1], s51, v2
	v_cmp_gt_i32_e32 vcc, s3, v25
	v_cmp_gt_i32_e64 s[2:3], s36, v15
	s_and_b64 s[2:3], s[2:3], s[0:1]
	v_cmp_le_i32_e64 s[0:1], s55, v15
	s_sub_i32 s56, s56, s58
	s_and_b64 s[6:7], s[2:3], s[0:1]
	v_cmp_le_i32_e64 s[0:1], s53, v21
	v_cmp_gt_i32_e64 s[2:3], s56, v21
	s_and_b64 s[0:1], s[0:1], s[2:3]
	s_sub_i32 s52, s52, s54
	v_and_b32_e32 v39, 0x1f8, v38
	s_and_b64 s[6:7], s[6:7], s[0:1]
	v_cmp_le_i32_e64 s[0:1], s81, v22
	v_cmp_gt_i32_e64 s[2:3], s52, v22
	v_sub_u32_e32 v32, v39, v32
	v_lshlrev_b32_e32 v0, 2, v0
	s_and_b64 s[0:1], s[0:1], s[2:3]
	v_and_or_b32 v16, v0, 4, v32
	v_lshlrev_b32_e32 v0, 3, v31
	s_and_b64 s[0:1], s[6:7], s[0:1]
	v_and_or_b32 v31, v38, 4, v0
	s_and_b64 s[0:1], vcc, s[0:1]
	v_add_u32_e32 v38, v15, v27
	v_cmp_gt_i32_e64 s[6:7], s36, v38
	v_add_u32_e32 v39, v21, v28
	v_cmp_le_i32_e64 s[2:3], s55, v38
	v_add_u32_e32 v40, v22, v26
	s_load_dword s19, s[4:5], 0x22c
	s_load_dword s23, s[4:5], 0x238
	;; [unrolled: 1-line block ×4, first 2 shown]
	s_load_dwordx2 s[28:29], s[4:5], 0x210
	s_load_dwordx2 s[24:25], s[4:5], 0x220
	buffer_store_dword v33, off, s[84:87], 0 offset:8 ; 4-byte Folded Spill
	s_lshl_b32 s62, s63, 2
	s_waitcnt lgkmcnt(0)
	s_mov_b32 s29, 0
	s_mov_b32 s47, s43
	s_lshl_b32 s54, s61, 5
	v_lshlrev_b32_e32 v22, 1, v30
	s_lshl_b32 s58, s61, 6
	s_lshl_b32 s60, s63, 5
	v_mov_b32_e32 v61, 0
	v_mov_b32_e32 v57, 0
	;; [unrolled: 1-line block ×17, first 2 shown]
	s_waitcnt vmcnt(4)
	v_cndmask_b32_e64 v0, 0, v6, s[0:1]
	v_cndmask_b32_e64 v2, 0, v5, s[0:1]
	v_cndmask_b32_e64 v4, 0, v4, s[0:1]
	v_cndmask_b32_e64 v3, 0, v3, s[0:1]
	v_cmp_gt_i32_e64 s[0:1], s51, v33
	s_and_b64 s[0:1], s[6:7], s[0:1]
	s_and_b64 s[6:7], s[0:1], s[2:3]
	v_cmp_le_i32_e64 s[0:1], s53, v39
	v_cmp_gt_i32_e64 s[2:3], s56, v39
	s_and_b64 s[0:1], s[0:1], s[2:3]
	s_and_b64 s[6:7], s[6:7], s[0:1]
	v_cmp_le_i32_e64 s[0:1], s81, v40
	v_cmp_gt_i32_e64 s[2:3], s52, v40
	s_and_b64 s[0:1], s[0:1], s[2:3]
	s_and_b64 s[0:1], s[6:7], s[0:1]
	s_and_b64 s[0:1], vcc, s[0:1]
	s_waitcnt vmcnt(3)
	v_cndmask_b32_e64 v5, 0, v10, s[0:1]
	v_cndmask_b32_e64 v6, 0, v9, s[0:1]
	;; [unrolled: 1-line block ×4, first 2 shown]
	v_cmp_gt_i32_e64 s[2:3], s35, v29
	v_cmp_gt_i32_e64 s[0:1], s46, v23
	s_and_b64 s[2:3], s[2:3], s[0:1]
	s_waitcnt vmcnt(2)
	v_cndmask_b32_e64 v10, 0, v13, s[2:3]
	v_add_u32_e32 v13, s65, v29
	v_cndmask_b32_e64 v9, 0, v14, s[2:3]
	v_cndmask_b32_e64 v12, 0, v12, s[2:3]
	;; [unrolled: 1-line block ×3, first 2 shown]
	v_cmp_gt_i32_e64 s[2:3], s35, v13
	s_and_b64 s[2:3], s[2:3], s[0:1]
	s_waitcnt vmcnt(1)
	v_cndmask_b32_e64 v15, 0, v18, s[2:3]
	v_cndmask_b32_e64 v18, 0, v17, s[2:3]
	v_lshlrev_b32_e32 v17, 2, v24
	v_lshl_or_b32 v17, v1, 9, v17
	v_cndmask_b32_e64 v13, 0, v20, s[2:3]
	v_cndmask_b32_e64 v14, 0, v19, s[2:3]
	ds_write2st64_b32 v17, v3, v4 offset1:2
	ds_write2st64_b32 v17, v2, v0 offset0:4 offset1:6
	ds_write2st64_b32 v17, v7, v8 offset0:8 offset1:10
	;; [unrolled: 1-line block ×7, first 2 shown]
	v_or_b32_e32 v0, 36, v1
	v_mul_lo_u32 v2, s61, v0
	v_mul_lo_u32 v0, s63, v0
	buffer_store_dword v31, off, s[84:87], 0 offset:128 ; 4-byte Folded Spill
	buffer_store_dword v16, off, s[84:87], 0 offset:124 ; 4-byte Folded Spill
	;; [unrolled: 1-line block ×3, first 2 shown]
	v_or_b32_e32 v2, 32, v1
	v_mul_lo_u32 v3, s61, v2
	v_mul_lo_u32 v2, s63, v2
	s_mul_i32 s2, s63, 12
	s_mov_b32 s46, s10
	buffer_store_dword v3, off, s[84:87], 0 offset:88 ; 4-byte Folded Spill
	v_or_b32_e32 v3, 20, v1
	v_mul_lo_u32 v4, s61, v3
	v_or_b32_e32 v1, 16, v1
	v_mul_lo_u32 v5, s61, v1
	v_mul_lo_u32 v3, s63, v3
	;; [unrolled: 1-line block ×3, first 2 shown]
	buffer_store_dword v4, off, s[84:87], 0 offset:92 ; 4-byte Folded Spill
	v_lshlrev_b32_e32 v4, 1, v4
	buffer_store_dword v4, off, s[84:87], 0 offset:100 ; 4-byte Folded Spill
	buffer_store_dword v5, off, s[84:87], 0 offset:96 ; 4-byte Folded Spill
	v_lshlrev_b32_e32 v4, 1, v5
	v_lshlrev_b32_e32 v14, 2, v31
	;; [unrolled: 1-line block ×3, first 2 shown]
	s_sub_i32 s10, s64, 32
	buffer_store_dword v4, off, s[84:87], 0 offset:104 ; 4-byte Folded Spill
	s_sub_i32 s61, 0, s18
	s_add_i32 s62, s62, s2
	buffer_store_dword v0, off, s[84:87], 0 offset:116 ; 4-byte Folded Spill
	v_mov_b32_e32 v4, v0
	v_mov_b32_e32 v0, v3
	s_mov_b32 s63, 0
	v_mov_b32_e32 v66, 0
	v_mov_b32_e32 v68, 0
	;; [unrolled: 1-line block ×47, first 2 shown]
	s_mov_b32 s64, 0
	buffer_store_dword v2, off, s[84:87], 0 offset:120 ; 4-byte Folded Spill
	buffer_store_dword v3, off, s[84:87], 0 offset:112 ; 4-byte Folded Spill
	;; [unrolled: 1-line block ×3, first 2 shown]
.LBB10_1:                               ; =>This Inner Loop Header: Depth=1
	buffer_store_dword v1, off, s[84:87], 0 offset:4 ; 4-byte Folded Spill
	buffer_store_dword v0, off, s[84:87], 0 ; 4-byte Folded Spill
	buffer_store_dword v2, off, s[84:87], 0 offset:16 ; 4-byte Folded Spill
	buffer_store_dword v4, off, s[84:87], 0 offset:12 ; 4-byte Folded Spill
	v_mul_hi_u32 v2, s22, v2
	buffer_load_dword v0, off, s[84:87], 0 offset:4 ; 4-byte Folded Reload
	s_add_i32 s64, s64, 32
	buffer_store_dword v2, off, s[84:87], 0 offset:20 ; 4-byte Folded Spill
	v_mul_hi_u32 v2, s22, v4
	buffer_store_dword v2, off, s[84:87], 0 offset:36 ; 4-byte Folded Spill
	buffer_load_dword v2, off, s[84:87], 0 offset:108 ; 4-byte Folded Reload
	s_waitcnt vmcnt(3)
	v_mul_hi_u32 v1, s22, v0
	buffer_load_dword v0, off, s[84:87], 0  ; 4-byte Folded Reload
	s_waitcnt vmcnt(1)
	v_add_u32_e32 v4, s29, v2
	v_add_u32_e32 v1, v4, v1
	v_lshrrev_b32_e32 v1, s50, v1
	v_mul_hi_u32 v6, v1, s21
	v_mul_lo_u32 v5, s61, v1
	v_cmp_gt_i32_e64 s[2:3], s51, v4
	v_add_u32_e32 v6, v1, v6
	v_lshrrev_b32_e32 v6, s49, v6
	v_mul_lo_u32 v7, v6, s17
	v_add_u32_e32 v8, v4, v5
	v_sub_u32_e32 v5, v5, v56
	v_add_u32_e32 v5, v4, v5
	v_sub_u32_e32 v10, v1, v7
	v_mul_hi_u32 v7, v6, s20
	v_sub_u32_e32 v1, v10, v35
	v_mul_lo_u32 v1, v1, s78
	v_mul_lo_u32 v5, v5, s80
	v_add_u32_e32 v7, v6, v7
	v_lshrrev_b32_e32 v11, s48, v7
	v_mul_lo_u32 v7, v11, s16
	v_add_u32_e32 v20, v1, v38
	v_mul_lo_u32 v1, v1, s39
	v_cmp_gt_i32_e64 s[8:9], s36, v20
	v_sub_u32_e32 v13, v6, v7
	v_sub_u32_e32 v6, v13, v36
	v_sub_u32_e32 v7, v11, v34
	v_mul_lo_u32 v6, v6, s76
	v_mul_lo_u32 v7, v7, s74
	v_add3_u32 v1, v5, v37, v1
	v_cmp_le_i32_e64 s[6:7], s55, v20
	v_add_u32_e32 v21, v6, v39
	v_add_u32_e32 v23, v7, v40
	v_mul_lo_u32 v7, v7, s37
	v_mul_lo_u32 v6, v6, s38
	s_and_b64 s[2:3], s[8:9], s[2:3]
	s_and_b64 s[8:9], s[2:3], s[6:7]
	v_cmp_le_i32_e64 s[2:3], s53, v21
	v_add3_u32 v24, v1, v7, v6
	buffer_load_dword v1, off, s[84:87], 0 offset:96 ; 4-byte Folded Reload
	v_cmp_gt_i32_e64 s[6:7], s56, v21
	s_and_b64 s[2:3], s[2:3], s[6:7]
	s_and_b64 s[8:9], s[8:9], s[2:3]
	v_cmp_le_i32_e64 s[2:3], s81, v23
	v_cmp_gt_i32_e64 s[6:7], s52, v23
	s_and_b64 s[2:3], s[2:3], s[6:7]
	s_and_b64 s[2:3], s[2:3], s[8:9]
	s_and_b64 s[2:3], vcc, s[2:3]
	s_waitcnt vmcnt(1)
	v_mul_hi_u32 v0, s22, v0
	s_waitcnt vmcnt(0)
	v_add_u32_e32 v12, s63, v1
	v_lshlrev_b32_e32 v1, 1, v24
	buffer_load_dwordx4 v[33:36], v1, s[40:43], 0 offen
	s_waitcnt vmcnt(0)
	v_cndmask_b32_e64 v1, 0, v36, s[2:3]
	buffer_store_dword v1, off, s[84:87], 0 offset:24 ; 4-byte Folded Spill
	v_cndmask_b32_e64 v1, 0, v35, s[2:3]
	buffer_store_dword v1, off, s[84:87], 0 offset:28 ; 4-byte Folded Spill
	buffer_load_dword v1, off, s[84:87], 0 offset:112 ; 4-byte Folded Reload
	v_cndmask_b32_e64 v6, 0, v34, s[2:3]
	v_cndmask_b32_e64 v7, 0, v33, s[2:3]
	s_waitcnt vmcnt(0)
	v_add_u32_e32 v25, s29, v1
	v_add_u32_e32 v0, v25, v0
	v_lshrrev_b32_e32 v9, s50, v0
	v_mad_u64_u32 v[3:4], s[2:3], s61, v9, v[25:26]
	buffer_load_dword v0, off, s[84:87], 0 offset:104 ; 4-byte Folded Reload
	v_cmp_gt_i32_e64 s[2:3], s51, v25
	v_sub_u32_e32 v1, v3, v8
	v_mul_hi_u32 v8, v9, s21
	v_mul_lo_u32 v1, v1, s80
	v_add_u32_e32 v8, v9, v8
	v_lshrrev_b32_e32 v26, s49, v8
	v_mul_lo_u32 v8, v26, s17
	v_sub_u32_e32 v9, v9, v8
	v_mul_hi_u32 v8, v26, s20
	v_sub_u32_e32 v27, v9, v10
	v_mul_lo_u32 v27, v27, s78
	v_add_u32_e32 v8, v26, v8
	v_lshrrev_b32_e32 v8, s48, v8
	v_mul_lo_u32 v10, v8, s16
	v_sub_u32_e32 v10, v26, v10
	v_sub_u32_e32 v13, v10, v13
	;; [unrolled: 1-line block ×3, first 2 shown]
	v_add_u32_e32 v11, v27, v20
	v_mul_lo_u32 v13, v13, s76
	v_mul_lo_u32 v20, v26, s74
	v_cmp_gt_i32_e64 s[8:9], s36, v11
	v_cmp_le_i32_e64 s[6:7], s55, v11
	v_add_u32_e32 v33, v13, v21
	v_add_u32_e32 v34, v20, v23
	v_mul_lo_u32 v20, v20, s37
	v_mul_lo_u32 v21, v27, s39
	v_mul_lo_u32 v13, v13, s38
	s_and_b64 s[2:3], s[8:9], s[2:3]
	s_and_b64 s[8:9], s[2:3], s[6:7]
	v_add3_u32 v1, v21, v1, v20
	v_add3_u32 v35, v1, v24, v13
	v_lshlrev_b32_e32 v1, 1, v35
	buffer_load_dwordx4 v[38:41], v1, s[40:43], 0 offen
	v_cmp_le_i32_e64 s[2:3], s53, v33
	v_cmp_gt_i32_e64 s[6:7], s56, v33
	s_and_b64 s[2:3], s[2:3], s[6:7]
	s_and_b64 s[8:9], s[8:9], s[2:3]
	v_cmp_le_i32_e64 s[2:3], s81, v34
	v_cmp_gt_i32_e64 s[6:7], s52, v34
	s_and_b64 s[2:3], s[2:3], s[6:7]
	s_and_b64 s[2:3], s[2:3], s[8:9]
	s_and_b64 s[2:3], vcc, s[2:3]
	s_waitcnt vmcnt(0)
	v_cndmask_b32_e64 v5, 0, v41, s[2:3]
	v_cndmask_b32_e64 v36, 0, v40, s[2:3]
	;; [unrolled: 1-line block ×4, first 2 shown]
	v_cmp_gt_i32_e64 s[2:3], s35, v12
	v_add_u32_e32 v12, v0, v22
	buffer_load_dword v0, off, s[84:87], 0 offset:92 ; 4-byte Folded Reload
	buffer_load_dwordx4 v[42:45], v12, s[44:47], 0 offen
	s_and_b64 s[2:3], s[0:1], s[2:3]
	s_waitcnt vmcnt(1)
	v_add_u32_e32 v12, s63, v0
	buffer_load_dword v0, off, s[84:87], 0 offset:100 ; 4-byte Folded Reload
	s_waitcnt vmcnt(1)
	v_cndmask_b32_e64 v39, 0, v45, s[2:3]
	v_cndmask_b32_e64 v40, 0, v44, s[2:3]
	;; [unrolled: 1-line block ×4, first 2 shown]
	v_cmp_gt_i32_e64 s[2:3], s35, v12
	s_and_b64 s[2:3], s[0:1], s[2:3]
	s_waitcnt vmcnt(0)
	v_add_u32_e32 v13, v0, v22
	buffer_load_dwordx4 v[46:49], v13, s[44:47], 0 offen
	s_waitcnt vmcnt(0) lgkmcnt(0)
	s_barrier
	v_cndmask_b32_e64 v43, 0, v49, s[2:3]
	v_cndmask_b32_e64 v44, 0, v48, s[2:3]
	;; [unrolled: 1-line block ×3, first 2 shown]
	ds_read_b128 v[47:50], v14
	ds_read_b128 v[51:54], v15 offset:16384
	ds_read_b128 v[121:124], v15 offset:16640
	;; [unrolled: 1-line block ×3, first 2 shown]
	v_cndmask_b32_e64 v46, 0, v46, s[2:3]
	s_waitcnt lgkmcnt(2)
	v_dot2_f32_f16 v12, v47, v51, v120
	v_dot2_f32_f16 v13, v47, v52, v119
	;; [unrolled: 1-line block ×16, first 2 shown]
	s_waitcnt lgkmcnt(1)
	v_dot2_f32_f16 v112, v47, v121, v112
	v_dot2_f32_f16 v111, v47, v122, v111
	;; [unrolled: 1-line block ×16, first 2 shown]
	ds_read_b128 v[47:50], v14 offset:512
	s_waitcnt lgkmcnt(1)
	v_dot2_f32_f16 v81, v23, v51, v81
	v_dot2_f32_f16 v80, v23, v52, v80
	;; [unrolled: 1-line block ×16, first 2 shown]
	ds_read_b128 v[51:54], v15 offset:16896
	v_dot2_f32_f16 v72, v23, v121, v72
	v_dot2_f32_f16 v70, v23, v122, v70
	;; [unrolled: 1-line block ×16, first 2 shown]
	ds_read_b128 v[23:26], v15 offset:17152
	ds_read_b128 v[55:58], v14 offset:768
	s_waitcnt lgkmcnt(2)
	v_dot2_f32_f16 v12, v47, v51, v12
	v_dot2_f32_f16 v13, v47, v52, v13
	;; [unrolled: 1-line block ×16, first 2 shown]
	s_waitcnt lgkmcnt(1)
	v_dot2_f32_f16 v112, v47, v23, v112
	v_dot2_f32_f16 v111, v47, v24, v111
	;; [unrolled: 1-line block ×16, first 2 shown]
	ds_read_b128 v[47:50], v14 offset:1024
	s_waitcnt lgkmcnt(1)
	v_dot2_f32_f16 v81, v55, v51, v81
	v_dot2_f32_f16 v80, v55, v52, v80
	;; [unrolled: 1-line block ×16, first 2 shown]
	ds_read_b128 v[51:54], v15 offset:17408
	v_dot2_f32_f16 v72, v55, v23, v72
	v_dot2_f32_f16 v70, v55, v24, v70
	;; [unrolled: 1-line block ×16, first 2 shown]
	ds_read_b128 v[23:26], v15 offset:17664
	ds_read_b128 v[55:58], v14 offset:1280
	s_waitcnt lgkmcnt(2)
	v_dot2_f32_f16 v12, v47, v51, v12
	v_dot2_f32_f16 v13, v47, v52, v13
	v_dot2_f32_f16 v20, v47, v53, v20
	v_dot2_f32_f16 v21, v47, v54, v21
	v_dot2_f32_f16 v27, v48, v51, v27
	v_dot2_f32_f16 v28, v48, v52, v28
	v_dot2_f32_f16 v29, v48, v53, v29
	v_dot2_f32_f16 v113, v48, v54, v113
	v_dot2_f32_f16 v110, v49, v51, v110
	v_dot2_f32_f16 v108, v49, v52, v108
	v_dot2_f32_f16 v106, v49, v53, v106
	v_dot2_f32_f16 v105, v49, v54, v105
	v_dot2_f32_f16 v102, v50, v51, v102
	v_dot2_f32_f16 v100, v50, v52, v100
	v_dot2_f32_f16 v98, v50, v53, v98
	v_dot2_f32_f16 v97, v50, v54, v97
	s_waitcnt lgkmcnt(1)
	v_dot2_f32_f16 v112, v47, v23, v112
	v_dot2_f32_f16 v111, v47, v24, v111
	;; [unrolled: 1-line block ×16, first 2 shown]
	ds_read_b128 v[47:50], v14 offset:1536
	s_waitcnt lgkmcnt(1)
	v_dot2_f32_f16 v81, v55, v51, v81
	v_dot2_f32_f16 v80, v55, v52, v80
	;; [unrolled: 1-line block ×16, first 2 shown]
	ds_read_b128 v[51:54], v15 offset:17920
	v_dot2_f32_f16 v72, v55, v23, v72
	v_dot2_f32_f16 v70, v55, v24, v70
	;; [unrolled: 1-line block ×16, first 2 shown]
	ds_read_b128 v[23:26], v15 offset:18176
	ds_read_b128 v[55:58], v14 offset:1792
	s_waitcnt lgkmcnt(2)
	v_dot2_f32_f16 v12, v47, v51, v12
	v_dot2_f32_f16 v13, v47, v52, v13
	;; [unrolled: 1-line block ×16, first 2 shown]
	s_waitcnt lgkmcnt(1)
	v_dot2_f32_f16 v112, v47, v23, v112
	v_dot2_f32_f16 v111, v47, v24, v111
	;; [unrolled: 1-line block ×16, first 2 shown]
	ds_read_b128 v[47:50], v14 offset:2048
	s_waitcnt lgkmcnt(1)
	v_dot2_f32_f16 v81, v55, v51, v81
	v_dot2_f32_f16 v80, v55, v52, v80
	;; [unrolled: 1-line block ×16, first 2 shown]
	ds_read_b128 v[51:54], v15 offset:18432
	v_dot2_f32_f16 v72, v55, v23, v72
	v_dot2_f32_f16 v70, v55, v24, v70
	;; [unrolled: 1-line block ×16, first 2 shown]
	ds_read_b128 v[23:26], v15 offset:18688
	ds_read_b128 v[55:58], v14 offset:2304
	s_waitcnt lgkmcnt(2)
	v_dot2_f32_f16 v12, v47, v51, v12
	v_dot2_f32_f16 v13, v47, v52, v13
	;; [unrolled: 1-line block ×16, first 2 shown]
	s_waitcnt lgkmcnt(1)
	v_dot2_f32_f16 v112, v47, v23, v112
	v_dot2_f32_f16 v111, v47, v24, v111
	;; [unrolled: 1-line block ×16, first 2 shown]
	ds_read_b128 v[47:50], v14 offset:2560
	s_waitcnt lgkmcnt(1)
	v_dot2_f32_f16 v81, v55, v51, v81
	v_dot2_f32_f16 v80, v55, v52, v80
	v_dot2_f32_f16 v79, v55, v53, v79
	v_dot2_f32_f16 v78, v55, v54, v78
	v_dot2_f32_f16 v77, v56, v51, v77
	v_dot2_f32_f16 v76, v56, v52, v76
	v_dot2_f32_f16 v75, v56, v53, v75
	v_dot2_f32_f16 v74, v56, v54, v74
	v_dot2_f32_f16 v73, v57, v51, v73
	v_dot2_f32_f16 v71, v57, v52, v71
	v_dot2_f32_f16 v69, v57, v53, v69
	v_dot2_f32_f16 v67, v57, v54, v67
	v_dot2_f32_f16 v61, v58, v51, v61
	v_dot2_f32_f16 v90, v58, v52, v90
	v_dot2_f32_f16 v91, v58, v53, v91
	v_dot2_f32_f16 v92, v58, v54, v92
	ds_read_b128 v[51:54], v15 offset:18944
	v_dot2_f32_f16 v72, v55, v23, v72
	v_dot2_f32_f16 v70, v55, v24, v70
	;; [unrolled: 1-line block ×16, first 2 shown]
	ds_read_b128 v[23:26], v15 offset:19200
	ds_read_b128 v[55:58], v14 offset:2816
	s_waitcnt lgkmcnt(2)
	v_dot2_f32_f16 v12, v47, v51, v12
	v_dot2_f32_f16 v13, v47, v52, v13
	;; [unrolled: 1-line block ×16, first 2 shown]
	s_waitcnt lgkmcnt(1)
	v_dot2_f32_f16 v112, v47, v23, v112
	v_dot2_f32_f16 v111, v47, v24, v111
	;; [unrolled: 1-line block ×16, first 2 shown]
	ds_read_b128 v[47:50], v14 offset:3072
	s_waitcnt lgkmcnt(1)
	v_dot2_f32_f16 v81, v55, v51, v81
	v_dot2_f32_f16 v80, v55, v52, v80
	;; [unrolled: 1-line block ×16, first 2 shown]
	ds_read_b128 v[51:54], v15 offset:19456
	v_dot2_f32_f16 v72, v55, v23, v72
	v_dot2_f32_f16 v70, v55, v24, v70
	;; [unrolled: 1-line block ×16, first 2 shown]
	ds_read_b128 v[23:26], v15 offset:19712
	ds_read_b128 v[55:58], v14 offset:3328
	s_waitcnt lgkmcnt(2)
	v_dot2_f32_f16 v12, v47, v51, v12
	v_dot2_f32_f16 v13, v47, v52, v13
	;; [unrolled: 1-line block ×16, first 2 shown]
	s_waitcnt lgkmcnt(1)
	v_dot2_f32_f16 v112, v47, v23, v112
	v_dot2_f32_f16 v111, v47, v24, v111
	;; [unrolled: 1-line block ×16, first 2 shown]
	ds_read_b128 v[47:50], v14 offset:3584
	s_waitcnt lgkmcnt(1)
	v_dot2_f32_f16 v81, v55, v51, v81
	v_dot2_f32_f16 v80, v55, v52, v80
	;; [unrolled: 1-line block ×16, first 2 shown]
	ds_read_b128 v[51:54], v15 offset:19968
	v_dot2_f32_f16 v72, v55, v23, v72
	v_dot2_f32_f16 v70, v55, v24, v70
	;; [unrolled: 1-line block ×16, first 2 shown]
	ds_read_b128 v[23:26], v15 offset:20224
	ds_read_b128 v[55:58], v14 offset:3840
	s_waitcnt lgkmcnt(2)
	v_dot2_f32_f16 v12, v47, v51, v12
	v_dot2_f32_f16 v13, v47, v52, v13
	;; [unrolled: 1-line block ×16, first 2 shown]
	s_waitcnt lgkmcnt(1)
	v_dot2_f32_f16 v112, v47, v23, v112
	v_dot2_f32_f16 v111, v47, v24, v111
	;; [unrolled: 1-line block ×16, first 2 shown]
	ds_read_b128 v[47:50], v14 offset:4096
	s_waitcnt lgkmcnt(1)
	v_dot2_f32_f16 v81, v55, v51, v81
	v_dot2_f32_f16 v80, v55, v52, v80
	;; [unrolled: 1-line block ×16, first 2 shown]
	ds_read_b128 v[51:54], v15 offset:20480
	v_dot2_f32_f16 v72, v55, v23, v72
	v_dot2_f32_f16 v70, v55, v24, v70
	;; [unrolled: 1-line block ×16, first 2 shown]
	ds_read_b128 v[23:26], v15 offset:20736
	ds_read_b128 v[55:58], v14 offset:4352
	s_waitcnt lgkmcnt(2)
	v_dot2_f32_f16 v12, v47, v51, v12
	v_dot2_f32_f16 v13, v47, v52, v13
	;; [unrolled: 1-line block ×16, first 2 shown]
	s_waitcnt lgkmcnt(1)
	v_dot2_f32_f16 v112, v47, v23, v112
	v_dot2_f32_f16 v111, v47, v24, v111
	;; [unrolled: 1-line block ×16, first 2 shown]
	ds_read_b128 v[47:50], v14 offset:4608
	s_waitcnt lgkmcnt(1)
	v_dot2_f32_f16 v81, v55, v51, v81
	v_dot2_f32_f16 v80, v55, v52, v80
	;; [unrolled: 1-line block ×16, first 2 shown]
	ds_read_b128 v[51:54], v15 offset:20992
	v_dot2_f32_f16 v72, v55, v23, v72
	v_dot2_f32_f16 v70, v55, v24, v70
	;; [unrolled: 1-line block ×16, first 2 shown]
	ds_read_b128 v[23:26], v15 offset:21248
	ds_read_b128 v[55:58], v14 offset:4864
	s_waitcnt lgkmcnt(2)
	v_dot2_f32_f16 v12, v47, v51, v12
	v_dot2_f32_f16 v13, v47, v52, v13
	;; [unrolled: 1-line block ×16, first 2 shown]
	s_waitcnt lgkmcnt(1)
	v_dot2_f32_f16 v112, v47, v23, v112
	v_dot2_f32_f16 v111, v47, v24, v111
	;; [unrolled: 1-line block ×16, first 2 shown]
	ds_read_b128 v[47:50], v14 offset:5120
	s_waitcnt lgkmcnt(1)
	v_dot2_f32_f16 v81, v55, v51, v81
	v_dot2_f32_f16 v80, v55, v52, v80
	v_dot2_f32_f16 v79, v55, v53, v79
	v_dot2_f32_f16 v78, v55, v54, v78
	v_dot2_f32_f16 v77, v56, v51, v77
	v_dot2_f32_f16 v76, v56, v52, v76
	v_dot2_f32_f16 v75, v56, v53, v75
	v_dot2_f32_f16 v74, v56, v54, v74
	v_dot2_f32_f16 v73, v57, v51, v73
	v_dot2_f32_f16 v71, v57, v52, v71
	v_dot2_f32_f16 v69, v57, v53, v69
	v_dot2_f32_f16 v67, v57, v54, v67
	v_dot2_f32_f16 v61, v58, v51, v61
	v_dot2_f32_f16 v90, v58, v52, v90
	v_dot2_f32_f16 v91, v58, v53, v91
	v_dot2_f32_f16 v92, v58, v54, v92
	ds_read_b128 v[51:54], v15 offset:21504
	v_dot2_f32_f16 v72, v55, v23, v72
	v_dot2_f32_f16 v70, v55, v24, v70
	;; [unrolled: 1-line block ×16, first 2 shown]
	ds_read_b128 v[23:26], v15 offset:21760
	ds_read_b128 v[55:58], v14 offset:5376
	s_waitcnt lgkmcnt(2)
	v_dot2_f32_f16 v12, v47, v51, v12
	v_dot2_f32_f16 v13, v47, v52, v13
	;; [unrolled: 1-line block ×16, first 2 shown]
	s_waitcnt lgkmcnt(1)
	v_dot2_f32_f16 v112, v47, v23, v112
	v_dot2_f32_f16 v111, v47, v24, v111
	;; [unrolled: 1-line block ×16, first 2 shown]
	ds_read_b128 v[47:50], v14 offset:5632
	s_waitcnt lgkmcnt(1)
	v_dot2_f32_f16 v81, v55, v51, v81
	v_dot2_f32_f16 v80, v55, v52, v80
	;; [unrolled: 1-line block ×16, first 2 shown]
	ds_read_b128 v[51:54], v15 offset:22016
	v_dot2_f32_f16 v72, v55, v23, v72
	v_dot2_f32_f16 v70, v55, v24, v70
	;; [unrolled: 1-line block ×16, first 2 shown]
	ds_read_b128 v[23:26], v15 offset:22272
	ds_read_b128 v[55:58], v14 offset:5888
	s_waitcnt lgkmcnt(2)
	v_dot2_f32_f16 v12, v47, v51, v12
	v_dot2_f32_f16 v13, v47, v52, v13
	;; [unrolled: 1-line block ×16, first 2 shown]
	s_waitcnt lgkmcnt(1)
	v_dot2_f32_f16 v112, v47, v23, v112
	v_dot2_f32_f16 v111, v47, v24, v111
	v_dot2_f32_f16 v109, v47, v25, v109
	v_dot2_f32_f16 v107, v47, v26, v107
	v_dot2_f32_f16 v104, v48, v23, v104
	v_dot2_f32_f16 v103, v48, v24, v103
	v_dot2_f32_f16 v101, v48, v25, v101
	v_dot2_f32_f16 v99, v48, v26, v99
	v_dot2_f32_f16 v96, v49, v23, v96
	v_dot2_f32_f16 v95, v49, v24, v95
	v_dot2_f32_f16 v94, v49, v25, v94
	v_dot2_f32_f16 v93, v49, v26, v93
	v_dot2_f32_f16 v89, v50, v23, v89
	v_dot2_f32_f16 v88, v50, v24, v88
	v_dot2_f32_f16 v87, v50, v25, v87
	v_dot2_f32_f16 v86, v50, v26, v86
	ds_read_b128 v[47:50], v14 offset:6144
	s_waitcnt lgkmcnt(1)
	v_dot2_f32_f16 v81, v55, v51, v81
	v_dot2_f32_f16 v80, v55, v52, v80
	;; [unrolled: 1-line block ×16, first 2 shown]
	ds_read_b128 v[51:54], v15 offset:22528
	v_dot2_f32_f16 v72, v55, v23, v72
	v_dot2_f32_f16 v70, v55, v24, v70
	v_dot2_f32_f16 v68, v55, v25, v68
	v_dot2_f32_f16 v66, v55, v26, v66
	v_dot2_f32_f16 v65, v56, v23, v65
	v_dot2_f32_f16 v64, v56, v24, v64
	v_dot2_f32_f16 v63, v56, v25, v63
	v_dot2_f32_f16 v62, v56, v26, v62
	v_dot2_f32_f16 v60, v57, v23, v60
	v_dot2_f32_f16 v59, v57, v24, v59
	v_dot2_f32_f16 v114, v57, v25, v114
	v_dot2_f32_f16 v115, v57, v26, v115
	v_dot2_f32_f16 v82, v58, v23, v82
	v_dot2_f32_f16 v83, v58, v24, v83
	v_dot2_f32_f16 v84, v58, v25, v84
	v_dot2_f32_f16 v85, v58, v26, v85
	ds_read_b128 v[23:26], v15 offset:22784
	ds_read_b128 v[55:58], v14 offset:6400
	s_waitcnt lgkmcnt(2)
	v_dot2_f32_f16 v12, v47, v51, v12
	v_dot2_f32_f16 v13, v47, v52, v13
	;; [unrolled: 1-line block ×16, first 2 shown]
	s_waitcnt lgkmcnt(1)
	v_dot2_f32_f16 v112, v47, v23, v112
	v_dot2_f32_f16 v111, v47, v24, v111
	;; [unrolled: 1-line block ×16, first 2 shown]
	ds_read_b128 v[47:50], v14 offset:6656
	s_waitcnt lgkmcnt(1)
	v_dot2_f32_f16 v81, v55, v51, v81
	v_dot2_f32_f16 v80, v55, v52, v80
	;; [unrolled: 1-line block ×16, first 2 shown]
	ds_read_b128 v[51:54], v15 offset:23040
	v_dot2_f32_f16 v72, v55, v23, v72
	v_dot2_f32_f16 v70, v55, v24, v70
	;; [unrolled: 1-line block ×16, first 2 shown]
	ds_read_b128 v[23:26], v15 offset:23296
	ds_read_b128 v[55:58], v14 offset:6912
	s_waitcnt lgkmcnt(2)
	v_dot2_f32_f16 v12, v47, v51, v12
	v_dot2_f32_f16 v13, v47, v52, v13
	;; [unrolled: 1-line block ×16, first 2 shown]
	s_waitcnt lgkmcnt(1)
	v_dot2_f32_f16 v112, v47, v23, v112
	v_dot2_f32_f16 v111, v47, v24, v111
	;; [unrolled: 1-line block ×16, first 2 shown]
	ds_read_b128 v[47:50], v14 offset:7168
	s_waitcnt lgkmcnt(1)
	v_dot2_f32_f16 v81, v55, v51, v81
	v_dot2_f32_f16 v80, v55, v52, v80
	;; [unrolled: 1-line block ×16, first 2 shown]
	ds_read_b128 v[51:54], v15 offset:23552
	v_dot2_f32_f16 v72, v55, v23, v72
	v_dot2_f32_f16 v70, v55, v24, v70
	;; [unrolled: 1-line block ×16, first 2 shown]
	ds_read_b128 v[23:26], v15 offset:23808
	ds_read_b128 v[55:58], v14 offset:7424
	s_waitcnt lgkmcnt(2)
	v_dot2_f32_f16 v12, v47, v51, v12
	v_dot2_f32_f16 v13, v47, v52, v13
	v_dot2_f32_f16 v20, v47, v53, v20
	v_dot2_f32_f16 v21, v47, v54, v21
	v_dot2_f32_f16 v27, v48, v51, v27
	v_dot2_f32_f16 v28, v48, v52, v28
	v_dot2_f32_f16 v29, v48, v53, v29
	v_dot2_f32_f16 v113, v48, v54, v113
	v_dot2_f32_f16 v110, v49, v51, v110
	v_dot2_f32_f16 v108, v49, v52, v108
	v_dot2_f32_f16 v106, v49, v53, v106
	v_dot2_f32_f16 v105, v49, v54, v105
	v_dot2_f32_f16 v102, v50, v51, v102
	v_dot2_f32_f16 v116, v50, v52, v100
	v_dot2_f32_f16 v117, v50, v53, v98
	v_dot2_f32_f16 v118, v50, v54, v97
	s_waitcnt lgkmcnt(1)
	v_dot2_f32_f16 v112, v47, v23, v112
	v_dot2_f32_f16 v111, v47, v24, v111
	;; [unrolled: 1-line block ×16, first 2 shown]
	ds_read_b128 v[47:50], v14 offset:7680
	s_waitcnt lgkmcnt(1)
	v_dot2_f32_f16 v81, v55, v51, v81
	v_dot2_f32_f16 v80, v55, v52, v80
	;; [unrolled: 1-line block ×16, first 2 shown]
	ds_read_b128 v[51:54], v15 offset:24064
	v_dot2_f32_f16 v73, v55, v23, v72
	v_dot2_f32_f16 v74, v55, v24, v70
	;; [unrolled: 1-line block ×16, first 2 shown]
	ds_read_b128 v[23:26], v15 offset:24320
	ds_read_b128 v[69:72], v14 offset:7936
	ds_write2st64_b32 v17, v7, v6 offset0:32 offset1:34
	s_waitcnt lgkmcnt(3)
	v_dot2_f32_f16 v98, v49, v52, v108
	v_dot2_f32_f16 v89, v47, v51, v12
	s_waitcnt lgkmcnt(2)
	v_dot2_f32_f16 v108, v47, v26, v119
	v_dot2_f32_f16 v119, v50, v25, v87
	s_waitcnt lgkmcnt(1)
	v_dot2_f32_f16 v83, v71, v53, v0
	v_dot2_f32_f16 v87, v72, v53, v1
	buffer_load_dword v0, off, s[84:87], 0 offset:24 ; 4-byte Folded Reload
	buffer_load_dword v1, off, s[84:87], 0 offset:28 ; 4-byte Folded Reload
	s_waitcnt vmcnt(0)
	ds_write2st64_b32 v17, v1, v0 offset0:36 offset1:38
	ds_write2st64_b32 v17, v38, v37 offset0:40 offset1:42
	;; [unrolled: 1-line block ×7, first 2 shown]
	buffer_load_dword v0, off, s[84:87], 0 offset:120 ; 4-byte Folded Reload
	v_dot2_f32_f16 v103, v50, v53, v117
	v_dot2_f32_f16 v117, v50, v23, v19
	;; [unrolled: 1-line block ×4, first 2 shown]
	buffer_load_dword v30, off, s[84:87], 0 offset:88 ; 4-byte Folded Reload
	v_dot2_f32_f16 v90, v47, v52, v13
	v_dot2_f32_f16 v13, v69, v51, v81
	;; [unrolled: 1-line block ×54, first 2 shown]
	s_waitcnt vmcnt(1)
	v_add_u32_e32 v12, s29, v0
	buffer_load_dword v0, off, s[84:87], 0 offset:20 ; 4-byte Folded Reload
	s_waitcnt vmcnt(0)
	v_add_u32_e32 v0, v12, v0
	v_lshrrev_b32_e32 v0, s50, v0
	v_mad_u64_u32 v[1:2], s[2:3], s61, v0, v[12:13]
	v_cmp_gt_i32_e64 s[2:3], s51, v12
	buffer_load_dword v12, off, s[84:87], 0 offset:8 ; 4-byte Folded Reload
	v_sub_u32_e32 v2, v1, v3
	v_mul_hi_u32 v3, v0, s21
	v_mul_lo_u32 v2, v2, s80
	v_add_u32_e32 v3, v0, v3
	v_lshrrev_b32_e32 v3, s49, v3
	v_mul_lo_u32 v4, v3, s17
	v_sub_u32_e32 v5, v0, v4
	v_mul_hi_u32 v4, v3, s20
	v_sub_u32_e32 v0, v5, v9
	v_mul_lo_u32 v0, v0, s78
	v_add_u32_e32 v4, v3, v4
	v_lshrrev_b32_e32 v4, s48, v4
	v_mul_lo_u32 v6, v4, s16
	v_sub_u32_e32 v9, v4, v8
	v_add_u32_e32 v7, v0, v11
	v_mul_lo_u32 v0, v0, s39
	v_sub_u32_e32 v6, v3, v6
	v_sub_u32_e32 v3, v6, v10
	v_mul_lo_u32 v10, v9, s74
	v_mul_lo_u32 v3, v3, s76
	v_cmp_gt_i32_e64 s[8:9], s36, v7
	v_cmp_le_i32_e64 s[6:7], s55, v7
	v_add_u32_e32 v9, v10, v34
	v_mul_lo_u32 v10, v10, s37
	v_add_u32_e32 v8, v3, v33
	v_mul_lo_u32 v3, v3, s38
	s_and_b64 s[2:3], s[8:9], s[2:3]
	v_add3_u32 v0, v0, v2, v10
	s_and_b64 s[8:9], s[2:3], s[6:7]
	v_add3_u32 v10, v0, v3, v35
	v_lshlrev_b32_e32 v0, 1, v10
	buffer_load_dwordx4 v[23:26], v0, s[40:43], 0 offen
	v_cmp_le_i32_e64 s[2:3], s53, v8
	v_cmp_gt_i32_e64 s[6:7], s56, v8
	s_and_b64 s[2:3], s[2:3], s[6:7]
	s_and_b64 s[8:9], s[8:9], s[2:3]
	v_cmp_le_i32_e64 s[2:3], s81, v9
	v_cmp_gt_i32_e64 s[6:7], s52, v9
	s_and_b64 s[2:3], s[2:3], s[6:7]
	s_and_b64 s[2:3], s[2:3], s[8:9]
	s_and_b64 s[2:3], vcc, s[2:3]
	buffer_load_dword v3, off, s[84:87], 0 offset:36 ; 4-byte Folded Reload
	v_add_u32_e32 v2, s63, v30
	s_waitcnt vmcnt(1)
	v_cndmask_b32_e64 v0, 0, v26, s[2:3]
	buffer_store_dword v0, off, s[84:87], 0 offset:20 ; 4-byte Folded Spill
	v_cndmask_b32_e64 v0, 0, v25, s[2:3]
	buffer_store_dword v0, off, s[84:87], 0 offset:24 ; 4-byte Folded Spill
	v_cndmask_b32_e64 v0, 0, v24, s[2:3]
	buffer_store_dword v0, off, s[84:87], 0 offset:28 ; 4-byte Folded Spill
	v_cndmask_b32_e64 v0, 0, v23, s[2:3]
	buffer_store_dword v0, off, s[84:87], 0 offset:32 ; 4-byte Folded Spill
	buffer_load_dword v0, off, s[84:87], 0 offset:116 ; 4-byte Folded Reload
	s_add_i32 s2, s62, s62
	v_add_u32_e32 v12, s2, v12
	buffer_store_dword v12, off, s[84:87], 0 offset:8 ; 4-byte Folded Spill
	s_waitcnt vmcnt(1)
	v_add_u32_e32 v0, s29, v0
	v_add_u32_e32 v3, v0, v3
	v_lshrrev_b32_e32 v3, s50, v3
	v_mul_lo_u32 v11, v3, s18
	s_add_i32 s29, s29, s60
	v_sub_u32_e32 v56, v12, v11
	v_mad_u64_u32 v[11:12], s[2:3], s61, v3, v[0:1]
	v_cmp_gt_i32_e64 s[2:3], s51, v0
	v_sub_u32_e32 v1, v11, v1
	v_mul_hi_u32 v11, v3, s21
	v_mul_lo_u32 v1, v1, s80
	v_add_u32_e32 v11, v3, v11
	v_lshrrev_b32_e32 v11, s49, v11
	v_mul_lo_u32 v12, v11, s17
	v_sub_u32_e32 v35, v3, v12
	v_sub_u32_e32 v3, v35, v5
	v_mul_hi_u32 v5, v11, s20
	v_mul_lo_u32 v3, v3, s78
	v_add_u32_e32 v5, v11, v5
	v_lshrrev_b32_e32 v34, s48, v5
	v_mul_lo_u32 v5, v34, s16
	v_sub_u32_e32 v4, v34, v4
	v_mul_lo_u32 v4, v4, s74
	v_add_u32_e32 v38, v3, v7
	v_sub_u32_e32 v36, v11, v5
	v_sub_u32_e32 v5, v36, v6
	v_mul_lo_u32 v5, v5, s76
	v_add_u32_e32 v40, v4, v9
	v_mul_lo_u32 v4, v4, s37
	v_mul_lo_u32 v3, v3, s39
	v_add_u32_e32 v39, v5, v8
	v_mul_lo_u32 v5, v5, s38
	v_cmp_gt_i32_e64 s[8:9], s36, v38
	v_add3_u32 v1, v3, v1, v4
	v_cmp_le_i32_e64 s[6:7], s55, v38
	v_add3_u32 v37, v1, v5, v10
	v_lshlrev_b32_e32 v1, 1, v37
	buffer_load_dwordx4 v[3:6], v1, s[40:43], 0 offen
	s_and_b64 s[2:3], s[8:9], s[2:3]
	s_and_b64 s[8:9], s[2:3], s[6:7]
	v_cmp_le_i32_e64 s[2:3], s53, v39
	v_cmp_gt_i32_e64 s[6:7], s56, v39
	s_and_b64 s[2:3], s[2:3], s[6:7]
	s_and_b64 s[8:9], s[8:9], s[2:3]
	v_cmp_le_i32_e64 s[2:3], s81, v40
	v_cmp_gt_i32_e64 s[6:7], s52, v40
	s_and_b64 s[2:3], s[2:3], s[6:7]
	s_and_b64 s[2:3], s[2:3], s[8:9]
	s_and_b64 s[2:3], vcc, s[2:3]
	s_waitcnt vmcnt(0)
	v_cndmask_b32_e64 v0, 0, v6, s[2:3]
	buffer_store_dword v0, off, s[84:87], 0 offset:52 ; 4-byte Folded Spill
	v_cndmask_b32_e64 v0, 0, v5, s[2:3]
	buffer_store_dword v0, off, s[84:87], 0 offset:56 ; 4-byte Folded Spill
	v_cndmask_b32_e64 v0, 0, v4, s[2:3]
	buffer_store_dword v0, off, s[84:87], 0 offset:60 ; 4-byte Folded Spill
	v_cndmask_b32_e64 v0, 0, v3, s[2:3]
	buffer_store_dword v0, off, s[84:87], 0 offset:64 ; 4-byte Folded Spill
	v_lshlrev_b32_e32 v0, 1, v30
	v_add_u32_e32 v0, v0, v22
	v_cmp_gt_i32_e64 s[2:3], s35, v2
	buffer_load_dwordx4 v[0:3], v0, s[44:47], 0 offen
	s_and_b64 s[2:3], s[0:1], s[2:3]
	s_waitcnt vmcnt(0)
	v_cndmask_b32_e64 v1, 0, v1, s[2:3]
	buffer_store_dword v1, off, s[84:87], 0 offset:44 ; 4-byte Folded Spill
	buffer_load_dword v1, off, s[84:87], 0 offset:84 ; 4-byte Folded Reload
	v_cndmask_b32_e64 v0, 0, v0, s[2:3]
	buffer_store_dword v0, off, s[84:87], 0 offset:48 ; 4-byte Folded Spill
	v_cndmask_b32_e64 v3, 0, v3, s[2:3]
	v_cndmask_b32_e64 v2, 0, v2, s[2:3]
	buffer_store_dword v3, off, s[84:87], 0 offset:36 ; 4-byte Folded Spill
	buffer_store_dword v2, off, s[84:87], 0 offset:40 ; 4-byte Folded Spill
	s_waitcnt vmcnt(3)
	v_add_u32_e32 v0, s63, v1
	v_lshlrev_b32_e32 v1, 1, v1
	v_add_u32_e32 v1, v1, v22
	v_cmp_gt_i32_e64 s[2:3], s35, v0
	buffer_load_dwordx4 v[0:3], v1, s[44:47], 0 offen
	s_and_b64 s[2:3], s[0:1], s[2:3]
	s_add_i32 s63, s63, s54
	v_add_u32_e32 v22, s58, v22
	s_cmp_lt_i32 s64, s10
	s_waitcnt vmcnt(0)
	v_cndmask_b32_e64 v3, 0, v3, s[2:3]
	v_cndmask_b32_e64 v2, 0, v2, s[2:3]
	;; [unrolled: 1-line block ×4, first 2 shown]
	buffer_store_dword v3, off, s[84:87], 0 offset:68 ; 4-byte Folded Spill
	buffer_store_dword v2, off, s[84:87], 0 offset:72 ; 4-byte Folded Spill
	;; [unrolled: 1-line block ×4, first 2 shown]
	s_waitcnt vmcnt(0) lgkmcnt(0)
	s_barrier
	ds_read_b128 v[0:3], v14 offset:8192
	ds_read_b128 v[4:7], v15 offset:24576
	;; [unrolled: 1-line block ×4, first 2 shown]
	s_waitcnt lgkmcnt(2)
	v_dot2_f32_f16 v12, v0, v4, v89
	v_dot2_f32_f16 v30, v0, v5, v90
	;; [unrolled: 1-line block ×16, first 2 shown]
	s_waitcnt lgkmcnt(1)
	v_dot2_f32_f16 v92, v0, v8, v105
	v_dot2_f32_f16 v93, v0, v9, v106
	;; [unrolled: 1-line block ×16, first 2 shown]
	ds_read_b128 v[0:3], v14 offset:8704
	s_waitcnt lgkmcnt(1)
	v_dot2_f32_f16 v13, v23, v4, v13
	v_dot2_f32_f16 v19, v23, v5, v19
	;; [unrolled: 1-line block ×16, first 2 shown]
	ds_read_b128 v[4:7], v15 offset:25088
	v_dot2_f32_f16 v20, v23, v8, v20
	v_dot2_f32_f16 v29, v23, v9, v29
	;; [unrolled: 1-line block ×16, first 2 shown]
	ds_read_b128 v[8:11], v15 offset:25344
	ds_read_b128 v[23:26], v14 offset:8960
	s_waitcnt lgkmcnt(2)
	v_dot2_f32_f16 v12, v0, v4, v12
	v_dot2_f32_f16 v30, v0, v5, v30
	;; [unrolled: 1-line block ×16, first 2 shown]
	s_waitcnt lgkmcnt(1)
	v_dot2_f32_f16 v92, v0, v8, v92
	v_dot2_f32_f16 v93, v0, v9, v93
	;; [unrolled: 1-line block ×16, first 2 shown]
	ds_read_b128 v[0:3], v14 offset:9216
	s_waitcnt lgkmcnt(1)
	v_dot2_f32_f16 v13, v23, v4, v13
	v_dot2_f32_f16 v19, v23, v5, v19
	;; [unrolled: 1-line block ×16, first 2 shown]
	ds_read_b128 v[4:7], v15 offset:25600
	v_dot2_f32_f16 v20, v23, v8, v20
	v_dot2_f32_f16 v29, v23, v9, v29
	;; [unrolled: 1-line block ×16, first 2 shown]
	ds_read_b128 v[8:11], v15 offset:25856
	ds_read_b128 v[23:26], v14 offset:9472
	s_waitcnt lgkmcnt(2)
	v_dot2_f32_f16 v12, v0, v4, v12
	v_dot2_f32_f16 v30, v0, v5, v30
	;; [unrolled: 1-line block ×16, first 2 shown]
	s_waitcnt lgkmcnt(1)
	v_dot2_f32_f16 v92, v0, v8, v92
	v_dot2_f32_f16 v93, v0, v9, v93
	;; [unrolled: 1-line block ×16, first 2 shown]
	ds_read_b128 v[0:3], v14 offset:9728
	s_waitcnt lgkmcnt(1)
	v_dot2_f32_f16 v13, v23, v4, v13
	v_dot2_f32_f16 v19, v23, v5, v19
	;; [unrolled: 1-line block ×16, first 2 shown]
	ds_read_b128 v[4:7], v15 offset:26112
	v_dot2_f32_f16 v20, v23, v8, v20
	v_dot2_f32_f16 v29, v23, v9, v29
	;; [unrolled: 1-line block ×16, first 2 shown]
	ds_read_b128 v[8:11], v15 offset:26368
	ds_read_b128 v[23:26], v14 offset:9984
	s_waitcnt lgkmcnt(2)
	v_dot2_f32_f16 v12, v0, v4, v12
	v_dot2_f32_f16 v30, v0, v5, v30
	;; [unrolled: 1-line block ×16, first 2 shown]
	s_waitcnt lgkmcnt(1)
	v_dot2_f32_f16 v92, v0, v8, v92
	v_dot2_f32_f16 v93, v0, v9, v93
	;; [unrolled: 1-line block ×16, first 2 shown]
	ds_read_b128 v[0:3], v14 offset:10240
	s_waitcnt lgkmcnt(1)
	v_dot2_f32_f16 v13, v23, v4, v13
	v_dot2_f32_f16 v19, v23, v5, v19
	;; [unrolled: 1-line block ×16, first 2 shown]
	ds_read_b128 v[4:7], v15 offset:26624
	v_dot2_f32_f16 v20, v23, v8, v20
	v_dot2_f32_f16 v29, v23, v9, v29
	;; [unrolled: 1-line block ×16, first 2 shown]
	ds_read_b128 v[8:11], v15 offset:26880
	ds_read_b128 v[23:26], v14 offset:10496
	s_waitcnt lgkmcnt(2)
	v_dot2_f32_f16 v12, v0, v4, v12
	v_dot2_f32_f16 v30, v0, v5, v30
	;; [unrolled: 1-line block ×16, first 2 shown]
	s_waitcnt lgkmcnt(1)
	v_dot2_f32_f16 v92, v0, v8, v92
	v_dot2_f32_f16 v93, v0, v9, v93
	;; [unrolled: 1-line block ×16, first 2 shown]
	ds_read_b128 v[0:3], v14 offset:10752
	s_waitcnt lgkmcnt(1)
	v_dot2_f32_f16 v13, v23, v4, v13
	v_dot2_f32_f16 v19, v23, v5, v19
	;; [unrolled: 1-line block ×16, first 2 shown]
	ds_read_b128 v[4:7], v15 offset:27136
	v_dot2_f32_f16 v20, v23, v8, v20
	v_dot2_f32_f16 v29, v23, v9, v29
	;; [unrolled: 1-line block ×16, first 2 shown]
	ds_read_b128 v[8:11], v15 offset:27392
	ds_read_b128 v[23:26], v14 offset:11008
	s_waitcnt lgkmcnt(2)
	v_dot2_f32_f16 v12, v0, v4, v12
	v_dot2_f32_f16 v30, v0, v5, v30
	v_dot2_f32_f16 v31, v0, v6, v31
	v_dot2_f32_f16 v32, v0, v7, v32
	v_dot2_f32_f16 v57, v1, v4, v57
	v_dot2_f32_f16 v58, v1, v5, v58
	v_dot2_f32_f16 v59, v1, v6, v59
	v_dot2_f32_f16 v60, v1, v7, v60
	v_dot2_f32_f16 v62, v2, v4, v62
	v_dot2_f32_f16 v73, v2, v5, v73
	v_dot2_f32_f16 v74, v2, v6, v74
	v_dot2_f32_f16 v75, v2, v7, v75
	v_dot2_f32_f16 v76, v3, v4, v76
	v_dot2_f32_f16 v89, v3, v5, v89
	v_dot2_f32_f16 v90, v3, v6, v90
	v_dot2_f32_f16 v91, v3, v7, v91
	s_waitcnt lgkmcnt(1)
	v_dot2_f32_f16 v92, v0, v8, v92
	v_dot2_f32_f16 v93, v0, v9, v93
	;; [unrolled: 1-line block ×16, first 2 shown]
	ds_read_b128 v[0:3], v14 offset:11264
	s_waitcnt lgkmcnt(1)
	v_dot2_f32_f16 v13, v23, v4, v13
	v_dot2_f32_f16 v19, v23, v5, v19
	;; [unrolled: 1-line block ×16, first 2 shown]
	ds_read_b128 v[4:7], v15 offset:27648
	v_dot2_f32_f16 v20, v23, v8, v20
	v_dot2_f32_f16 v29, v23, v9, v29
	;; [unrolled: 1-line block ×16, first 2 shown]
	ds_read_b128 v[8:11], v15 offset:27904
	ds_read_b128 v[23:26], v14 offset:11520
	s_waitcnt lgkmcnt(2)
	v_dot2_f32_f16 v12, v0, v4, v12
	v_dot2_f32_f16 v30, v0, v5, v30
	;; [unrolled: 1-line block ×16, first 2 shown]
	s_waitcnt lgkmcnt(1)
	v_dot2_f32_f16 v92, v0, v8, v92
	v_dot2_f32_f16 v93, v0, v9, v93
	;; [unrolled: 1-line block ×16, first 2 shown]
	ds_read_b128 v[0:3], v14 offset:11776
	s_waitcnt lgkmcnt(1)
	v_dot2_f32_f16 v13, v23, v4, v13
	v_dot2_f32_f16 v19, v23, v5, v19
	;; [unrolled: 1-line block ×16, first 2 shown]
	ds_read_b128 v[4:7], v15 offset:28160
	v_dot2_f32_f16 v20, v23, v8, v20
	v_dot2_f32_f16 v29, v23, v9, v29
	;; [unrolled: 1-line block ×16, first 2 shown]
	ds_read_b128 v[8:11], v15 offset:28416
	ds_read_b128 v[23:26], v14 offset:12032
	s_waitcnt lgkmcnt(2)
	v_dot2_f32_f16 v12, v0, v4, v12
	v_dot2_f32_f16 v30, v0, v5, v30
	;; [unrolled: 1-line block ×16, first 2 shown]
	s_waitcnt lgkmcnt(1)
	v_dot2_f32_f16 v92, v0, v8, v92
	v_dot2_f32_f16 v93, v0, v9, v93
	;; [unrolled: 1-line block ×16, first 2 shown]
	ds_read_b128 v[0:3], v14 offset:12288
	s_waitcnt lgkmcnt(1)
	v_dot2_f32_f16 v13, v23, v4, v13
	v_dot2_f32_f16 v19, v23, v5, v19
	;; [unrolled: 1-line block ×16, first 2 shown]
	ds_read_b128 v[4:7], v15 offset:28672
	v_dot2_f32_f16 v20, v23, v8, v20
	v_dot2_f32_f16 v29, v23, v9, v29
	;; [unrolled: 1-line block ×16, first 2 shown]
	ds_read_b128 v[8:11], v15 offset:28928
	ds_read_b128 v[23:26], v14 offset:12544
	s_waitcnt lgkmcnt(2)
	v_dot2_f32_f16 v12, v0, v4, v12
	v_dot2_f32_f16 v30, v0, v5, v30
	;; [unrolled: 1-line block ×16, first 2 shown]
	s_waitcnt lgkmcnt(1)
	v_dot2_f32_f16 v92, v0, v8, v92
	v_dot2_f32_f16 v93, v0, v9, v93
	;; [unrolled: 1-line block ×16, first 2 shown]
	ds_read_b128 v[0:3], v14 offset:12800
	s_waitcnt lgkmcnt(1)
	v_dot2_f32_f16 v13, v23, v4, v13
	v_dot2_f32_f16 v19, v23, v5, v19
	;; [unrolled: 1-line block ×16, first 2 shown]
	ds_read_b128 v[4:7], v15 offset:29184
	v_dot2_f32_f16 v20, v23, v8, v20
	v_dot2_f32_f16 v29, v23, v9, v29
	;; [unrolled: 1-line block ×16, first 2 shown]
	ds_read_b128 v[8:11], v15 offset:29440
	ds_read_b128 v[23:26], v14 offset:13056
	s_waitcnt lgkmcnt(2)
	v_dot2_f32_f16 v12, v0, v4, v12
	v_dot2_f32_f16 v30, v0, v5, v30
	;; [unrolled: 1-line block ×16, first 2 shown]
	s_waitcnt lgkmcnt(1)
	v_dot2_f32_f16 v92, v0, v8, v92
	v_dot2_f32_f16 v93, v0, v9, v93
	;; [unrolled: 1-line block ×16, first 2 shown]
	ds_read_b128 v[0:3], v14 offset:13312
	s_waitcnt lgkmcnt(1)
	v_dot2_f32_f16 v13, v23, v4, v13
	v_dot2_f32_f16 v19, v23, v5, v19
	;; [unrolled: 1-line block ×16, first 2 shown]
	ds_read_b128 v[4:7], v15 offset:29696
	v_dot2_f32_f16 v20, v23, v8, v20
	v_dot2_f32_f16 v29, v23, v9, v29
	;; [unrolled: 1-line block ×16, first 2 shown]
	ds_read_b128 v[8:11], v15 offset:29952
	ds_read_b128 v[23:26], v14 offset:13568
	s_waitcnt lgkmcnt(2)
	v_dot2_f32_f16 v12, v0, v4, v12
	v_dot2_f32_f16 v30, v0, v5, v30
	;; [unrolled: 1-line block ×16, first 2 shown]
	s_waitcnt lgkmcnt(1)
	v_dot2_f32_f16 v92, v0, v8, v92
	v_dot2_f32_f16 v93, v0, v9, v93
	;; [unrolled: 1-line block ×16, first 2 shown]
	ds_read_b128 v[0:3], v14 offset:13824
	s_waitcnt lgkmcnt(1)
	v_dot2_f32_f16 v13, v23, v4, v13
	v_dot2_f32_f16 v19, v23, v5, v19
	v_dot2_f32_f16 v27, v23, v6, v27
	v_dot2_f32_f16 v28, v23, v7, v28
	v_dot2_f32_f16 v77, v24, v4, v77
	v_dot2_f32_f16 v78, v24, v5, v78
	v_dot2_f32_f16 v79, v24, v6, v79
	v_dot2_f32_f16 v80, v24, v7, v80
	v_dot2_f32_f16 v81, v25, v4, v81
	v_dot2_f32_f16 v82, v25, v5, v82
	v_dot2_f32_f16 v83, v25, v6, v83
	v_dot2_f32_f16 v84, v25, v7, v84
	v_dot2_f32_f16 v85, v26, v4, v85
	v_dot2_f32_f16 v86, v26, v5, v86
	v_dot2_f32_f16 v87, v26, v6, v87
	v_dot2_f32_f16 v88, v26, v7, v88
	ds_read_b128 v[4:7], v15 offset:30208
	v_dot2_f32_f16 v20, v23, v8, v20
	v_dot2_f32_f16 v29, v23, v9, v29
	;; [unrolled: 1-line block ×16, first 2 shown]
	ds_read_b128 v[8:11], v15 offset:30464
	ds_read_b128 v[23:26], v14 offset:14080
	s_waitcnt lgkmcnt(2)
	v_dot2_f32_f16 v12, v0, v4, v12
	v_dot2_f32_f16 v30, v0, v5, v30
	;; [unrolled: 1-line block ×16, first 2 shown]
	s_waitcnt lgkmcnt(1)
	v_dot2_f32_f16 v92, v0, v8, v92
	v_dot2_f32_f16 v93, v0, v9, v93
	;; [unrolled: 1-line block ×16, first 2 shown]
	ds_read_b128 v[0:3], v14 offset:14336
	s_waitcnt lgkmcnt(1)
	v_dot2_f32_f16 v13, v23, v4, v13
	v_dot2_f32_f16 v19, v23, v5, v19
	v_dot2_f32_f16 v27, v23, v6, v27
	v_dot2_f32_f16 v28, v23, v7, v28
	v_dot2_f32_f16 v77, v24, v4, v77
	v_dot2_f32_f16 v78, v24, v5, v78
	v_dot2_f32_f16 v79, v24, v6, v79
	v_dot2_f32_f16 v80, v24, v7, v80
	v_dot2_f32_f16 v81, v25, v4, v81
	v_dot2_f32_f16 v82, v25, v5, v82
	v_dot2_f32_f16 v83, v25, v6, v83
	v_dot2_f32_f16 v84, v25, v7, v84
	v_dot2_f32_f16 v85, v26, v4, v85
	v_dot2_f32_f16 v86, v26, v5, v86
	v_dot2_f32_f16 v87, v26, v6, v87
	v_dot2_f32_f16 v88, v26, v7, v88
	ds_read_b128 v[4:7], v15 offset:30720
	v_dot2_f32_f16 v20, v23, v8, v20
	v_dot2_f32_f16 v29, v23, v9, v29
	;; [unrolled: 1-line block ×16, first 2 shown]
	ds_read_b128 v[8:11], v15 offset:30976
	ds_read_b128 v[23:26], v14 offset:14592
	s_waitcnt lgkmcnt(2)
	v_dot2_f32_f16 v12, v0, v4, v12
	v_dot2_f32_f16 v30, v0, v5, v30
	;; [unrolled: 1-line block ×16, first 2 shown]
	s_waitcnt lgkmcnt(1)
	v_dot2_f32_f16 v92, v0, v8, v92
	v_dot2_f32_f16 v93, v0, v9, v93
	;; [unrolled: 1-line block ×16, first 2 shown]
	ds_read_b128 v[0:3], v14 offset:14848
	s_waitcnt lgkmcnt(1)
	v_dot2_f32_f16 v13, v23, v4, v13
	v_dot2_f32_f16 v19, v23, v5, v19
	;; [unrolled: 1-line block ×16, first 2 shown]
	ds_read_b128 v[4:7], v15 offset:31232
	v_dot2_f32_f16 v20, v23, v8, v20
	v_dot2_f32_f16 v29, v23, v9, v29
	;; [unrolled: 1-line block ×16, first 2 shown]
	ds_read_b128 v[8:11], v15 offset:31488
	ds_read_b128 v[23:26], v14 offset:15104
	s_waitcnt lgkmcnt(2)
	v_dot2_f32_f16 v12, v0, v4, v12
	v_dot2_f32_f16 v30, v0, v5, v30
	;; [unrolled: 1-line block ×16, first 2 shown]
	s_waitcnt lgkmcnt(1)
	v_dot2_f32_f16 v92, v0, v8, v92
	v_dot2_f32_f16 v117, v0, v9, v93
	;; [unrolled: 1-line block ×16, first 2 shown]
	ds_read_b128 v[0:3], v14 offset:15360
	ds_read_b128 v[107:110], v15 offset:31744
	s_waitcnt lgkmcnt(2)
	v_dot2_f32_f16 v13, v23, v4, v13
	v_dot2_f32_f16 v19, v23, v5, v19
	v_dot2_f32_f16 v27, v23, v6, v27
	v_dot2_f32_f16 v28, v23, v7, v28
	v_dot2_f32_f16 v44, v24, v4, v77
	v_dot2_f32_f16 v45, v24, v5, v78
	v_dot2_f32_f16 v46, v24, v6, v79
	v_dot2_f32_f16 v47, v24, v7, v80
	v_dot2_f32_f16 v48, v25, v4, v81
	v_dot2_f32_f16 v49, v25, v5, v82
	v_dot2_f32_f16 v50, v25, v6, v83
	v_dot2_f32_f16 v51, v25, v7, v84
	v_dot2_f32_f16 v52, v26, v4, v85
	v_dot2_f32_f16 v53, v26, v5, v86
	v_dot2_f32_f16 v54, v26, v6, v87
	v_dot2_f32_f16 v55, v26, v7, v88
	v_dot2_f32_f16 v88, v23, v8, v20
	v_dot2_f32_f16 v89, v23, v9, v29
	v_dot2_f32_f16 v93, v23, v10, v16
	v_dot2_f32_f16 v94, v23, v11, v18
	v_dot2_f32_f16 v95, v24, v8, v61
	v_dot2_f32_f16 v96, v24, v9, v21
	v_dot2_f32_f16 v97, v24, v10, v63
	v_dot2_f32_f16 v98, v24, v11, v64
	v_dot2_f32_f16 v99, v25, v8, v65
	v_dot2_f32_f16 v100, v25, v9, v66
	v_dot2_f32_f16 v101, v25, v10, v67
	v_dot2_f32_f16 v102, v25, v11, v68
	v_dot2_f32_f16 v103, v26, v8, v69
	v_dot2_f32_f16 v104, v26, v9, v70
	v_dot2_f32_f16 v105, v26, v10, v71
	v_dot2_f32_f16 v106, v26, v11, v72
	ds_read_b128 v[4:7], v15 offset:32000
	ds_read_b128 v[8:11], v14 offset:15616
	s_waitcnt lgkmcnt(2)
	v_dot2_f32_f16 v57, v0, v107, v12
	v_dot2_f32_f16 v58, v0, v108, v30
	;; [unrolled: 1-line block ×16, first 2 shown]
	s_waitcnt lgkmcnt(1)
	v_dot2_f32_f16 v73, v0, v4, v92
	v_dot2_f32_f16 v74, v0, v5, v117
	;; [unrolled: 1-line block ×16, first 2 shown]
	ds_read_b128 v[0:3], v14 offset:15872
	s_waitcnt lgkmcnt(1)
	v_dot2_f32_f16 v91, v8, v107, v13
	v_dot2_f32_f16 v92, v8, v108, v19
	;; [unrolled: 1-line block ×16, first 2 shown]
	ds_read_b128 v[26:29], v15 offset:32256
	v_dot2_f32_f16 v16, v8, v4, v88
	v_dot2_f32_f16 v18, v8, v5, v89
	;; [unrolled: 1-line block ×16, first 2 shown]
	ds_read_b128 v[4:7], v15 offset:32512
	ds_read_b128 v[8:11], v14 offset:16128
	s_waitcnt lgkmcnt(2)
	v_dot2_f32_f16 v120, v0, v26, v57
	v_dot2_f32_f16 v119, v0, v27, v58
	;; [unrolled: 1-line block ×16, first 2 shown]
	s_waitcnt lgkmcnt(1)
	v_dot2_f32_f16 v112, v0, v4, v73
	v_dot2_f32_f16 v111, v0, v5, v74
	;; [unrolled: 1-line block ×4, first 2 shown]
	buffer_load_dword v0, off, s[84:87], 0  ; 4-byte Folded Reload
	v_dot2_f32_f16 v104, v1, v4, v77
	v_dot2_f32_f16 v103, v1, v5, v78
	;; [unrolled: 1-line block ×4, first 2 shown]
	buffer_load_dword v1, off, s[84:87], 0 offset:4 ; 4-byte Folded Reload
	v_dot2_f32_f16 v96, v2, v4, v81
	v_dot2_f32_f16 v95, v2, v5, v82
	;; [unrolled: 1-line block ×4, first 2 shown]
	buffer_load_dword v2, off, s[84:87], 0 offset:16 ; 4-byte Folded Reload
	v_dot2_f32_f16 v89, v3, v4, v85
	v_dot2_f32_f16 v88, v3, v5, v86
	;; [unrolled: 1-line block ×4, first 2 shown]
	s_waitcnt lgkmcnt(0)
	v_dot2_f32_f16 v72, v8, v4, v16
	v_dot2_f32_f16 v70, v8, v5, v18
	;; [unrolled: 1-line block ×7, first 2 shown]
	buffer_load_dword v4, off, s[84:87], 0 offset:12 ; 4-byte Folded Reload
	v_dot2_f32_f16 v83, v11, v5, v47
	buffer_load_dword v3, off, s[84:87], 0 offset:28 ; 4-byte Folded Reload
	buffer_load_dword v5, off, s[84:87], 0 offset:32 ; 4-byte Folded Reload
	v_dot2_f32_f16 v81, v8, v26, v91
	v_dot2_f32_f16 v80, v8, v27, v92
	;; [unrolled: 1-line block ×24, first 2 shown]
	s_waitcnt vmcnt(5)
	v_add_u32_e32 v0, s60, v0
	s_waitcnt vmcnt(4)
	v_add_u32_e32 v1, s60, v1
	;; [unrolled: 2-line block ×4, first 2 shown]
	s_waitcnt vmcnt(0)
	ds_write2st64_b32 v17, v5, v3 offset1:2
	buffer_load_dword v3, off, s[84:87], 0 offset:20 ; 4-byte Folded Reload
	buffer_load_dword v5, off, s[84:87], 0 offset:24 ; 4-byte Folded Reload
	s_waitcnt vmcnt(0)
	ds_write2st64_b32 v17, v5, v3 offset0:4 offset1:6
	buffer_load_dword v3, off, s[84:87], 0 offset:60 ; 4-byte Folded Reload
	buffer_load_dword v5, off, s[84:87], 0 offset:64 ; 4-byte Folded Reload
	s_waitcnt vmcnt(0)
	ds_write2st64_b32 v17, v5, v3 offset0:8 offset1:10
	;; [unrolled: 4-line block ×7, first 2 shown]
	s_cbranch_scc1 .LBB10_1
; %bb.2:
	s_waitcnt lgkmcnt(0)
	s_barrier
	ds_read_b128 v[0:3], v14
	ds_read_b128 v[4:7], v15 offset:16384
	ds_read_b128 v[8:11], v15 offset:16640
	;; [unrolled: 1-line block ×3, first 2 shown]
	s_mul_i32 s2, s14, s59
	s_mul_hi_u32 s3, s14, s57
	s_add_i32 s2, s3, s2
	s_waitcnt lgkmcnt(2)
	v_dot2_f32_f16 v12, v0, v4, v120
	v_dot2_f32_f16 v13, v0, v5, v119
	;; [unrolled: 1-line block ×16, first 2 shown]
	s_waitcnt lgkmcnt(1)
	v_dot2_f32_f16 v34, v0, v8, v112
	v_dot2_f32_f16 v35, v0, v9, v111
	;; [unrolled: 1-line block ×16, first 2 shown]
	ds_read_b128 v[0:3], v14 offset:512
	s_waitcnt lgkmcnt(1)
	v_dot2_f32_f16 v50, v16, v4, v81
	v_dot2_f32_f16 v51, v16, v5, v80
	;; [unrolled: 1-line block ×16, first 2 shown]
	ds_read_b128 v[4:7], v15 offset:16896
	v_dot2_f32_f16 v72, v16, v8, v72
	v_dot2_f32_f16 v70, v16, v9, v70
	;; [unrolled: 1-line block ×16, first 2 shown]
	ds_read_b128 v[8:11], v15 offset:17152
	ds_read_b128 v[16:19], v14 offset:768
	s_waitcnt lgkmcnt(2)
	v_dot2_f32_f16 v12, v0, v4, v12
	v_dot2_f32_f16 v13, v0, v5, v13
	;; [unrolled: 1-line block ×16, first 2 shown]
	s_waitcnt lgkmcnt(1)
	v_dot2_f32_f16 v34, v0, v8, v34
	v_dot2_f32_f16 v35, v0, v9, v35
	;; [unrolled: 1-line block ×16, first 2 shown]
	ds_read_b128 v[0:3], v14 offset:1024
	s_waitcnt lgkmcnt(1)
	v_dot2_f32_f16 v50, v16, v4, v50
	v_dot2_f32_f16 v51, v16, v5, v51
	;; [unrolled: 1-line block ×16, first 2 shown]
	ds_read_b128 v[4:7], v15 offset:17408
	v_dot2_f32_f16 v72, v16, v8, v72
	v_dot2_f32_f16 v70, v16, v9, v70
	;; [unrolled: 1-line block ×16, first 2 shown]
	ds_read_b128 v[8:11], v15 offset:17664
	ds_read_b128 v[16:19], v14 offset:1280
	s_waitcnt lgkmcnt(2)
	v_dot2_f32_f16 v12, v0, v4, v12
	v_dot2_f32_f16 v13, v0, v5, v13
	;; [unrolled: 1-line block ×16, first 2 shown]
	s_waitcnt lgkmcnt(1)
	v_dot2_f32_f16 v34, v0, v8, v34
	v_dot2_f32_f16 v35, v0, v9, v35
	;; [unrolled: 1-line block ×16, first 2 shown]
	ds_read_b128 v[0:3], v14 offset:1536
	s_waitcnt lgkmcnt(1)
	v_dot2_f32_f16 v50, v16, v4, v50
	v_dot2_f32_f16 v51, v16, v5, v51
	;; [unrolled: 1-line block ×16, first 2 shown]
	ds_read_b128 v[4:7], v15 offset:17920
	v_dot2_f32_f16 v72, v16, v8, v72
	v_dot2_f32_f16 v70, v16, v9, v70
	v_dot2_f32_f16 v68, v16, v10, v68
	v_dot2_f32_f16 v66, v16, v11, v66
	v_dot2_f32_f16 v65, v17, v8, v65
	v_dot2_f32_f16 v64, v17, v9, v64
	v_dot2_f32_f16 v63, v17, v10, v63
	v_dot2_f32_f16 v62, v17, v11, v62
	v_dot2_f32_f16 v60, v18, v8, v60
	v_dot2_f32_f16 v59, v18, v9, v59
	v_dot2_f32_f16 v58, v18, v10, v58
	v_dot2_f32_f16 v57, v18, v11, v57
	v_dot2_f32_f16 v78, v19, v8, v78
	v_dot2_f32_f16 v79, v19, v9, v79
	v_dot2_f32_f16 v80, v19, v10, v80
	v_dot2_f32_f16 v81, v19, v11, v81
	ds_read_b128 v[8:11], v15 offset:18176
	ds_read_b128 v[16:19], v14 offset:1792
	s_waitcnt lgkmcnt(2)
	v_dot2_f32_f16 v12, v0, v4, v12
	v_dot2_f32_f16 v13, v0, v5, v13
	;; [unrolled: 1-line block ×16, first 2 shown]
	s_waitcnt lgkmcnt(1)
	v_dot2_f32_f16 v34, v0, v8, v34
	v_dot2_f32_f16 v35, v0, v9, v35
	;; [unrolled: 1-line block ×16, first 2 shown]
	ds_read_b128 v[0:3], v14 offset:2048
	s_waitcnt lgkmcnt(1)
	v_dot2_f32_f16 v50, v16, v4, v50
	v_dot2_f32_f16 v51, v16, v5, v51
	;; [unrolled: 1-line block ×16, first 2 shown]
	ds_read_b128 v[4:7], v15 offset:18432
	v_dot2_f32_f16 v72, v16, v8, v72
	v_dot2_f32_f16 v70, v16, v9, v70
	;; [unrolled: 1-line block ×16, first 2 shown]
	ds_read_b128 v[8:11], v15 offset:18688
	ds_read_b128 v[16:19], v14 offset:2304
	s_waitcnt lgkmcnt(2)
	v_dot2_f32_f16 v12, v0, v4, v12
	v_dot2_f32_f16 v13, v0, v5, v13
	;; [unrolled: 1-line block ×16, first 2 shown]
	s_waitcnt lgkmcnt(1)
	v_dot2_f32_f16 v34, v0, v8, v34
	v_dot2_f32_f16 v35, v0, v9, v35
	;; [unrolled: 1-line block ×16, first 2 shown]
	ds_read_b128 v[0:3], v14 offset:2560
	s_waitcnt lgkmcnt(1)
	v_dot2_f32_f16 v50, v16, v4, v50
	v_dot2_f32_f16 v51, v16, v5, v51
	v_dot2_f32_f16 v52, v16, v6, v52
	v_dot2_f32_f16 v53, v16, v7, v53
	v_dot2_f32_f16 v54, v17, v4, v54
	v_dot2_f32_f16 v55, v17, v5, v55
	v_dot2_f32_f16 v56, v17, v6, v56
	v_dot2_f32_f16 v74, v17, v7, v74
	v_dot2_f32_f16 v73, v18, v4, v73
	v_dot2_f32_f16 v71, v18, v5, v71
	v_dot2_f32_f16 v69, v18, v6, v69
	v_dot2_f32_f16 v67, v18, v7, v67
	v_dot2_f32_f16 v61, v19, v4, v61
	v_dot2_f32_f16 v75, v19, v5, v75
	v_dot2_f32_f16 v76, v19, v6, v76
	v_dot2_f32_f16 v77, v19, v7, v77
	ds_read_b128 v[4:7], v15 offset:18944
	v_dot2_f32_f16 v72, v16, v8, v72
	v_dot2_f32_f16 v70, v16, v9, v70
	;; [unrolled: 1-line block ×16, first 2 shown]
	ds_read_b128 v[8:11], v15 offset:19200
	ds_read_b128 v[16:19], v14 offset:2816
	s_waitcnt lgkmcnt(2)
	v_dot2_f32_f16 v12, v0, v4, v12
	v_dot2_f32_f16 v13, v0, v5, v13
	;; [unrolled: 1-line block ×16, first 2 shown]
	s_waitcnt lgkmcnt(1)
	v_dot2_f32_f16 v34, v0, v8, v34
	v_dot2_f32_f16 v35, v0, v9, v35
	;; [unrolled: 1-line block ×16, first 2 shown]
	ds_read_b128 v[0:3], v14 offset:3072
	s_waitcnt lgkmcnt(1)
	v_dot2_f32_f16 v50, v16, v4, v50
	v_dot2_f32_f16 v51, v16, v5, v51
	v_dot2_f32_f16 v52, v16, v6, v52
	v_dot2_f32_f16 v53, v16, v7, v53
	v_dot2_f32_f16 v54, v17, v4, v54
	v_dot2_f32_f16 v55, v17, v5, v55
	v_dot2_f32_f16 v56, v17, v6, v56
	v_dot2_f32_f16 v74, v17, v7, v74
	v_dot2_f32_f16 v73, v18, v4, v73
	v_dot2_f32_f16 v71, v18, v5, v71
	v_dot2_f32_f16 v69, v18, v6, v69
	v_dot2_f32_f16 v67, v18, v7, v67
	v_dot2_f32_f16 v61, v19, v4, v61
	v_dot2_f32_f16 v75, v19, v5, v75
	v_dot2_f32_f16 v76, v19, v6, v76
	v_dot2_f32_f16 v77, v19, v7, v77
	ds_read_b128 v[4:7], v15 offset:19456
	v_dot2_f32_f16 v72, v16, v8, v72
	v_dot2_f32_f16 v70, v16, v9, v70
	;; [unrolled: 1-line block ×16, first 2 shown]
	ds_read_b128 v[8:11], v15 offset:19712
	ds_read_b128 v[16:19], v14 offset:3328
	s_waitcnt lgkmcnt(2)
	v_dot2_f32_f16 v12, v0, v4, v12
	v_dot2_f32_f16 v13, v0, v5, v13
	v_dot2_f32_f16 v20, v0, v6, v20
	v_dot2_f32_f16 v21, v0, v7, v21
	v_dot2_f32_f16 v22, v1, v4, v22
	v_dot2_f32_f16 v23, v1, v5, v23
	v_dot2_f32_f16 v24, v1, v6, v24
	v_dot2_f32_f16 v25, v1, v7, v25
	v_dot2_f32_f16 v26, v2, v4, v26
	v_dot2_f32_f16 v27, v2, v5, v27
	v_dot2_f32_f16 v28, v2, v6, v28
	v_dot2_f32_f16 v29, v2, v7, v29
	v_dot2_f32_f16 v30, v3, v4, v30
	v_dot2_f32_f16 v31, v3, v5, v31
	v_dot2_f32_f16 v32, v3, v6, v32
	v_dot2_f32_f16 v33, v3, v7, v33
	s_waitcnt lgkmcnt(1)
	v_dot2_f32_f16 v34, v0, v8, v34
	v_dot2_f32_f16 v35, v0, v9, v35
	;; [unrolled: 1-line block ×16, first 2 shown]
	ds_read_b128 v[0:3], v14 offset:3584
	s_waitcnt lgkmcnt(1)
	v_dot2_f32_f16 v50, v16, v4, v50
	v_dot2_f32_f16 v51, v16, v5, v51
	;; [unrolled: 1-line block ×16, first 2 shown]
	ds_read_b128 v[4:7], v15 offset:19968
	v_dot2_f32_f16 v72, v16, v8, v72
	v_dot2_f32_f16 v70, v16, v9, v70
	;; [unrolled: 1-line block ×16, first 2 shown]
	ds_read_b128 v[8:11], v15 offset:20224
	ds_read_b128 v[16:19], v14 offset:3840
	s_waitcnt lgkmcnt(2)
	v_dot2_f32_f16 v12, v0, v4, v12
	v_dot2_f32_f16 v13, v0, v5, v13
	;; [unrolled: 1-line block ×16, first 2 shown]
	s_waitcnt lgkmcnt(1)
	v_dot2_f32_f16 v34, v0, v8, v34
	v_dot2_f32_f16 v35, v0, v9, v35
	;; [unrolled: 1-line block ×16, first 2 shown]
	ds_read_b128 v[0:3], v14 offset:4096
	s_waitcnt lgkmcnt(1)
	v_dot2_f32_f16 v50, v16, v4, v50
	v_dot2_f32_f16 v51, v16, v5, v51
	;; [unrolled: 1-line block ×16, first 2 shown]
	ds_read_b128 v[4:7], v15 offset:20480
	v_dot2_f32_f16 v72, v16, v8, v72
	v_dot2_f32_f16 v70, v16, v9, v70
	;; [unrolled: 1-line block ×16, first 2 shown]
	ds_read_b128 v[8:11], v15 offset:20736
	ds_read_b128 v[16:19], v14 offset:4352
	s_waitcnt lgkmcnt(2)
	v_dot2_f32_f16 v12, v0, v4, v12
	v_dot2_f32_f16 v13, v0, v5, v13
	;; [unrolled: 1-line block ×16, first 2 shown]
	s_waitcnt lgkmcnt(1)
	v_dot2_f32_f16 v34, v0, v8, v34
	v_dot2_f32_f16 v35, v0, v9, v35
	;; [unrolled: 1-line block ×16, first 2 shown]
	ds_read_b128 v[0:3], v14 offset:4608
	s_waitcnt lgkmcnt(1)
	v_dot2_f32_f16 v50, v16, v4, v50
	v_dot2_f32_f16 v51, v16, v5, v51
	;; [unrolled: 1-line block ×16, first 2 shown]
	ds_read_b128 v[4:7], v15 offset:20992
	v_dot2_f32_f16 v72, v16, v8, v72
	v_dot2_f32_f16 v70, v16, v9, v70
	;; [unrolled: 1-line block ×16, first 2 shown]
	ds_read_b128 v[8:11], v15 offset:21248
	ds_read_b128 v[16:19], v14 offset:4864
	s_waitcnt lgkmcnt(2)
	v_dot2_f32_f16 v12, v0, v4, v12
	v_dot2_f32_f16 v13, v0, v5, v13
	;; [unrolled: 1-line block ×16, first 2 shown]
	s_waitcnt lgkmcnt(1)
	v_dot2_f32_f16 v34, v0, v8, v34
	v_dot2_f32_f16 v35, v0, v9, v35
	;; [unrolled: 1-line block ×16, first 2 shown]
	ds_read_b128 v[0:3], v14 offset:5120
	s_waitcnt lgkmcnt(1)
	v_dot2_f32_f16 v50, v16, v4, v50
	v_dot2_f32_f16 v51, v16, v5, v51
	;; [unrolled: 1-line block ×16, first 2 shown]
	ds_read_b128 v[4:7], v15 offset:21504
	v_dot2_f32_f16 v72, v16, v8, v72
	v_dot2_f32_f16 v70, v16, v9, v70
	;; [unrolled: 1-line block ×16, first 2 shown]
	ds_read_b128 v[8:11], v15 offset:21760
	ds_read_b128 v[16:19], v14 offset:5376
	s_waitcnt lgkmcnt(2)
	v_dot2_f32_f16 v12, v0, v4, v12
	v_dot2_f32_f16 v13, v0, v5, v13
	;; [unrolled: 1-line block ×16, first 2 shown]
	s_waitcnt lgkmcnt(1)
	v_dot2_f32_f16 v34, v0, v8, v34
	v_dot2_f32_f16 v35, v0, v9, v35
	;; [unrolled: 1-line block ×16, first 2 shown]
	ds_read_b128 v[0:3], v14 offset:5632
	s_waitcnt lgkmcnt(1)
	v_dot2_f32_f16 v50, v16, v4, v50
	v_dot2_f32_f16 v51, v16, v5, v51
	v_dot2_f32_f16 v52, v16, v6, v52
	v_dot2_f32_f16 v53, v16, v7, v53
	v_dot2_f32_f16 v54, v17, v4, v54
	v_dot2_f32_f16 v55, v17, v5, v55
	v_dot2_f32_f16 v56, v17, v6, v56
	v_dot2_f32_f16 v74, v17, v7, v74
	v_dot2_f32_f16 v73, v18, v4, v73
	v_dot2_f32_f16 v71, v18, v5, v71
	v_dot2_f32_f16 v69, v18, v6, v69
	v_dot2_f32_f16 v67, v18, v7, v67
	v_dot2_f32_f16 v61, v19, v4, v61
	v_dot2_f32_f16 v75, v19, v5, v75
	v_dot2_f32_f16 v76, v19, v6, v76
	v_dot2_f32_f16 v77, v19, v7, v77
	ds_read_b128 v[4:7], v15 offset:22016
	v_dot2_f32_f16 v72, v16, v8, v72
	v_dot2_f32_f16 v70, v16, v9, v70
	;; [unrolled: 1-line block ×16, first 2 shown]
	ds_read_b128 v[8:11], v15 offset:22272
	ds_read_b128 v[16:19], v14 offset:5888
	s_waitcnt lgkmcnt(2)
	v_dot2_f32_f16 v12, v0, v4, v12
	v_dot2_f32_f16 v13, v0, v5, v13
	;; [unrolled: 1-line block ×16, first 2 shown]
	s_waitcnt lgkmcnt(1)
	v_dot2_f32_f16 v34, v0, v8, v34
	v_dot2_f32_f16 v35, v0, v9, v35
	;; [unrolled: 1-line block ×16, first 2 shown]
	ds_read_b128 v[0:3], v14 offset:6144
	s_waitcnt lgkmcnt(1)
	v_dot2_f32_f16 v50, v16, v4, v50
	v_dot2_f32_f16 v51, v16, v5, v51
	;; [unrolled: 1-line block ×16, first 2 shown]
	ds_read_b128 v[4:7], v15 offset:22528
	v_dot2_f32_f16 v72, v16, v8, v72
	v_dot2_f32_f16 v70, v16, v9, v70
	v_dot2_f32_f16 v68, v16, v10, v68
	v_dot2_f32_f16 v66, v16, v11, v66
	v_dot2_f32_f16 v65, v17, v8, v65
	v_dot2_f32_f16 v64, v17, v9, v64
	v_dot2_f32_f16 v63, v17, v10, v63
	v_dot2_f32_f16 v62, v17, v11, v62
	v_dot2_f32_f16 v60, v18, v8, v60
	v_dot2_f32_f16 v59, v18, v9, v59
	v_dot2_f32_f16 v58, v18, v10, v58
	v_dot2_f32_f16 v57, v18, v11, v57
	v_dot2_f32_f16 v78, v19, v8, v78
	v_dot2_f32_f16 v79, v19, v9, v79
	v_dot2_f32_f16 v80, v19, v10, v80
	v_dot2_f32_f16 v81, v19, v11, v81
	ds_read_b128 v[8:11], v15 offset:22784
	ds_read_b128 v[16:19], v14 offset:6400
	s_waitcnt lgkmcnt(2)
	v_dot2_f32_f16 v12, v0, v4, v12
	v_dot2_f32_f16 v13, v0, v5, v13
	;; [unrolled: 1-line block ×16, first 2 shown]
	s_waitcnt lgkmcnt(1)
	v_dot2_f32_f16 v34, v0, v8, v34
	v_dot2_f32_f16 v35, v0, v9, v35
	;; [unrolled: 1-line block ×16, first 2 shown]
	ds_read_b128 v[0:3], v14 offset:6656
	s_waitcnt lgkmcnt(1)
	v_dot2_f32_f16 v50, v16, v4, v50
	v_dot2_f32_f16 v51, v16, v5, v51
	;; [unrolled: 1-line block ×16, first 2 shown]
	ds_read_b128 v[4:7], v15 offset:23040
	v_dot2_f32_f16 v72, v16, v8, v72
	v_dot2_f32_f16 v70, v16, v9, v70
	;; [unrolled: 1-line block ×16, first 2 shown]
	ds_read_b128 v[8:11], v15 offset:23296
	ds_read_b128 v[16:19], v14 offset:6912
	s_waitcnt lgkmcnt(2)
	v_dot2_f32_f16 v12, v0, v4, v12
	v_dot2_f32_f16 v13, v0, v5, v13
	;; [unrolled: 1-line block ×16, first 2 shown]
	s_waitcnt lgkmcnt(1)
	v_dot2_f32_f16 v34, v0, v8, v34
	v_dot2_f32_f16 v35, v0, v9, v35
	;; [unrolled: 1-line block ×16, first 2 shown]
	ds_read_b128 v[0:3], v14 offset:7168
	s_waitcnt lgkmcnt(1)
	v_dot2_f32_f16 v50, v16, v4, v50
	v_dot2_f32_f16 v51, v16, v5, v51
	;; [unrolled: 1-line block ×16, first 2 shown]
	ds_read_b128 v[4:7], v15 offset:23552
	v_dot2_f32_f16 v72, v16, v8, v72
	v_dot2_f32_f16 v70, v16, v9, v70
	;; [unrolled: 1-line block ×16, first 2 shown]
	ds_read_b128 v[8:11], v15 offset:23808
	ds_read_b128 v[16:19], v14 offset:7424
	s_waitcnt lgkmcnt(2)
	v_dot2_f32_f16 v12, v0, v4, v12
	v_dot2_f32_f16 v13, v0, v5, v13
	;; [unrolled: 1-line block ×16, first 2 shown]
	s_waitcnt lgkmcnt(1)
	v_dot2_f32_f16 v85, v0, v8, v34
	v_dot2_f32_f16 v35, v0, v9, v35
	;; [unrolled: 1-line block ×16, first 2 shown]
	ds_read_b128 v[0:3], v14 offset:7680
	ds_read_b128 v[44:47], v15 offset:24064
	s_waitcnt lgkmcnt(2)
	v_dot2_f32_f16 v50, v16, v4, v50
	v_dot2_f32_f16 v97, v16, v6, v52
	;; [unrolled: 1-line block ×10, first 2 shown]
	ds_read_b128 v[52:55], v15 offset:24320
	ds_read_b128 v[61:64], v14 offset:7936
	buffer_load_dword v4, off, s[84:87], 0 offset:128 ; 4-byte Folded Reload
	v_dot2_f32_f16 v51, v16, v5, v51
	v_dot2_f32_f16 v101, v18, v5, v71
	;; [unrolled: 1-line block ×3, first 2 shown]
	buffer_load_dword v5, off, s[84:87], 0 offset:124 ; 4-byte Folded Reload
	s_mul_i32 s3, s15, s57
	s_add_i32 s3, s2, s3
	s_mul_i32 s2, s14, s57
	s_lshl_b64 s[2:3], s[2:3], 1
	s_load_dwordx2 s[0:1], s[4:5], 0x10
	s_add_u32 s8, s72, s2
	s_addc_u32 s6, s73, s3
	s_mul_i32 s2, s12, s59
	s_mul_hi_u32 s3, s12, s57
	s_add_i32 s2, s3, s2
	s_mul_i32 s3, s13, s57
	s_add_i32 s3, s2, s3
	s_mul_i32 s2, s12, s57
	s_lshl_b64 s[2:3], s[2:3], 1
	s_waitcnt lgkmcnt(0)
	s_add_u32 s12, s0, s2
	s_addc_u32 s0, s1, s3
	s_lshl_b32 s14, s28, 1
	s_and_b32 s13, s0, 0xffff
	s_mov_b32 s15, 0x20000
	v_dot2_f32_f16 v67, v18, v7, v67
	v_dot2_f32_f16 v109, v0, v44, v12
	;; [unrolled: 1-line block ×26, first 2 shown]
	s_lshl_b32 s7, s27, 6
	v_dot2_f32_f16 v114, v0, v52, v85
	v_dot2_f32_f16 v115, v0, v53, v35
	;; [unrolled: 1-line block ×29, first 2 shown]
	s_waitcnt vmcnt(1)
	v_lshl_or_b32 v31, s31, 7, v4
	v_mul_lo_u32 v4, v31, s26
	v_dot2_f32_f16 v3, v61, v55, v66
	v_dot2_f32_f16 v66, v63, v53, v59
	s_waitcnt vmcnt(0)
	v_lshl_add_u32 v34, s33, 7, v5
	v_mad_u64_u32 v[4:5], s[2:3], v34, s27, v[4:5]
	v_dot2_f32_f16 v24, v1, v46, v24
	v_dot2_f32_f16 v25, v1, v47, v25
	v_lshlrev_b32_e32 v5, 1, v4
	buffer_load_dwordx2 v[20:21], v5, s[12:15], 0 offen
	v_add_u32_e32 v12, s26, v4
	v_add_u32_e32 v67, s26, v12
	v_lshlrev_b32_e32 v0, 1, v12
	v_lshlrev_b32_e32 v2, 1, v67
	buffer_load_dwordx2 v[70:71], v0, s[12:15], 0 offen
	buffer_load_dwordx2 v[82:83], v2, s[12:15], 0 offen
	v_add_lshl_u32 v0, v12, s7, 1
	v_add_lshl_u32 v12, v67, s7, 1
	buffer_load_dwordx2 v[84:85], v12, s[12:15], 0 offen
	buffer_load_dwordx2 v[77:78], v0, s[12:15], 0 offen
	v_add_lshl_u32 v5, v4, s7, 1
	buffer_load_dwordx2 v[48:49], v5, s[12:15], 0 offen
	v_add_u32_e32 v45, s26, v67
	v_dot2_f32_f16 v4, v62, v46, v56
	v_dot2_f32_f16 v56, v64, v44, v102
	;; [unrolled: 1-line block ×5, first 2 shown]
	v_add_lshl_u32 v53, v45, s7, 1
	v_dot2_f32_f16 v116, v1, v52, v87
	v_dot2_f32_f16 v32, v1, v54, v89
	v_dot2_f32_f16 v33, v1, v55, v90
	v_dot2_f32_f16 v1, v61, v47, v98
	v_dot2_f32_f16 v15, v64, v47, v7
	buffer_load_dwordx2 v[88:89], v53, s[12:15], 0 offen
	v_dot2_f32_f16 v5, v62, v47, v74
	v_lshlrev_b32_e32 v47, 1, v45
	buffer_load_dwordx2 v[86:87], v47, s[12:15], 0 offen
	v_cmp_gt_i32_e32 vcc, s30, v34
	v_cmp_gt_i32_e64 s[2:3], s11, v31
	s_and_b64 s[0:1], s[2:3], vcc
	v_dot2_f32_f16 v0, v61, v46, v97
	v_dot2_f32_f16 v8, v63, v46, v69
	;; [unrolled: 1-line block ×9, first 2 shown]
	v_or_b32_e32 v59, 1, v31
	v_dot2_f32_f16 v7, v62, v55, v105
	v_dot2_f32_f16 v6, v62, v54, v104
	s_lshl_b32 s10, s34, 1
	s_and_b32 s9, s6, 0xffff
	s_waitcnt vmcnt(7)
	v_cndmask_b32_e64 v73, 0, v21, s[0:1]
	v_cndmask_b32_e64 v21, 0, v20, s[0:1]
	v_cvt_f32_f16_e32 v47, v21
	v_cvt_f32_f16_sdwa v52, v21 dst_sel:DWORD dst_unused:UNUSED_PAD src0_sel:WORD_1
	v_dot2_f32_f16 v20, v64, v54, v80
	v_dot2_f32_f16 v21, v64, v55, v81
	v_add_f32_e32 v47, v109, v47
	v_max_f32_e32 v75, 0, v47
	v_add_f32_e32 v47, v110, v52
	v_add_u32_e32 v52, 64, v34
	v_cmp_gt_i32_e64 s[0:1], s30, v52
	s_and_b64 s[2:3], s[2:3], s[0:1]
	s_waitcnt vmcnt(2)
	v_cndmask_b32_e64 v63, 0, v49, s[2:3]
	v_cndmask_b32_e64 v49, 0, v48, s[2:3]
	v_cvt_f32_f16_e32 v53, v49
	v_max_f32_e32 v80, 0, v47
	v_mad_u64_u32 v[47:48], s[2:3], s26, 61, v[45:46]
	v_add_f32_e32 v45, v114, v53
	v_cvt_f32_f16_sdwa v53, v49 dst_sel:DWORD dst_unused:UNUSED_PAD src0_sel:WORD_1
	v_max_f32_e32 v74, 0, v45
	v_lshlrev_b32_e32 v45, 1, v47
	buffer_load_dwordx2 v[48:49], v45, s[12:15], 0 offen
	v_cmp_gt_i32_e64 s[2:3], s11, v59
	s_and_b64 s[4:5], s[2:3], vcc
	v_add_lshl_u32 v57, v47, s7, 1
	buffer_load_dwordx2 v[90:91], v57, s[12:15], 0 offen
	v_add_f32_e32 v45, v115, v53
	v_cndmask_b32_e64 v53, 0, v70, s[4:5]
	v_cvt_f32_f16_e32 v55, v53
	v_max_f32_e32 v81, 0, v45
	s_and_b64 s[2:3], s[2:3], s[0:1]
	v_add_u32_e32 v47, s26, v47
	v_add_f32_e32 v45, v111, v55
	v_max_f32_e32 v62, 0, v45
	v_cvt_f32_f16_sdwa v45, v53 dst_sel:DWORD dst_unused:UNUSED_PAD src0_sel:WORD_1
	v_cndmask_b32_e64 v53, 0, v77, s[2:3]
	v_cvt_f32_f16_e32 v55, v53
	v_lshlrev_b32_e32 v57, 1, v47
	buffer_load_dwordx2 v[92:93], v57, s[12:15], 0 offen
	v_add_f32_e32 v45, v112, v45
	v_max_f32_e32 v72, 0, v45
	v_add_f32_e32 v45, v116, v55
	v_cvt_f32_f16_sdwa v53, v53 dst_sel:DWORD dst_unused:UNUSED_PAD src0_sel:WORD_1
	v_or_b32_e32 v55, 2, v31
	v_cndmask_b32_e64 v76, 0, v78, s[2:3]
	v_cmp_gt_i32_e64 s[2:3], s11, v55
	v_add_lshl_u32 v57, v47, s7, 1
	v_cndmask_b32_e64 v54, 0, v71, s[4:5]
	buffer_load_dwordx2 v[94:95], v57, s[12:15], 0 offen
	s_and_b64 s[4:5], s[2:3], vcc
	v_cndmask_b32_e64 v57, 0, v82, s[4:5]
	v_max_f32_e32 v99, 0, v45
	v_add_f32_e32 v45, v117, v53
	v_cvt_f32_f16_sdwa v53, v57 dst_sel:DWORD dst_unused:UNUSED_PAD src0_sel:WORD_1
	v_cvt_f32_f16_e32 v61, v57
	v_add_u32_e32 v47, s26, v47
	v_max_f32_e32 v100, 0, v45
	v_add_f32_e32 v36, v36, v53
	v_add_f32_e32 v45, v113, v61
	v_lshlrev_b32_e32 v57, 1, v47
	s_and_b64 s[2:3], s[2:3], s[0:1]
	v_max_f32_e32 v79, 0, v36
	v_add_lshl_u32 v36, v47, s7, 1
	v_cndmask_b32_e64 v67, 0, v83, s[4:5]
	buffer_load_dwordx2 v[96:97], v57, s[12:15], 0 offen
	v_max_f32_e32 v78, 0, v45
	v_cndmask_b32_e64 v45, 0, v84, s[2:3]
	buffer_load_dwordx2 v[83:84], v36, s[12:15], 0 offen
	v_or_b32_e32 v57, 3, v31
	v_cndmask_b32_e64 v65, 0, v85, s[2:3]
	v_cmp_gt_i32_e64 s[2:3], s11, v57
	v_add_u32_e32 v47, s26, v47
	s_and_b64 s[4:5], s[2:3], vcc
	v_lshlrev_b32_e32 v70, 1, v47
	v_cvt_f32_f16_e32 v53, v45
	s_waitcnt vmcnt(6)
	v_cndmask_b32_e64 v61, 0, v86, s[4:5]
	buffer_load_dwordx2 v[85:86], v70, s[12:15], 0 offen
	v_cvt_f32_f16_sdwa v45, v45 dst_sel:DWORD dst_unused:UNUSED_PAD src0_sel:WORD_1
	v_add_f32_e32 v36, v118, v53
	s_and_b64 s[2:3], s[2:3], s[0:1]
	v_add_lshl_u32 v47, v47, s7, 1
	v_cndmask_b32_e64 v53, 0, v87, s[4:5]
	v_max_f32_e32 v82, 0, v36
	v_add_f32_e32 v36, v119, v45
	v_cndmask_b32_e64 v45, 0, v88, s[2:3]
	buffer_load_dwordx2 v[87:88], v47, s[12:15], 0 offen
	v_max_f32_e32 v101, 0, v36
	v_cvt_f32_f16_sdwa v36, v61 dst_sel:DWORD dst_unused:UNUSED_PAD src0_sel:WORD_1
	v_cvt_f32_f16_e32 v47, v45
	v_cndmask_b32_e64 v77, 0, v89, s[2:3]
	v_cvt_f32_f16_e32 v64, v61
	v_add_f32_e32 v26, v26, v36
	v_max_f32_e32 v71, 0, v26
	v_or_b32_e32 v26, 64, v31
	v_cmp_gt_i32_e64 s[2:3], s11, v26
	s_and_b64 s[4:5], s[2:3], vcc
	v_cvt_f32_f16_sdwa v36, v45 dst_sel:DWORD dst_unused:UNUSED_PAD src0_sel:WORD_1
	v_add_f32_e32 v35, v35, v47
	s_and_b64 s[2:3], s[2:3], s[0:1]
	v_add_f32_e32 v27, v27, v64
	v_add_f32_e32 v28, v28, v36
	s_waitcnt vmcnt(7)
	v_cndmask_b32_e64 v45, 0, v48, s[4:5]
	v_cvt_f32_f16_e32 v47, v45
	v_max_f32_e32 v102, 0, v28
	v_max_f32_e32 v89, 0, v35
	s_waitcnt vmcnt(6)
	v_cndmask_b32_e64 v35, 0, v91, s[2:3]
	v_add_f32_e32 v28, v29, v47
	v_cvt_f32_f16_sdwa v29, v45 dst_sel:DWORD dst_unused:UNUSED_PAD src0_sel:WORD_1
	v_cndmask_b32_e64 v36, 0, v90, s[2:3]
	v_max_f32_e32 v70, 0, v27
	v_cndmask_b32_e64 v27, 0, v49, s[4:5]
	v_add_f32_e32 v29, v30, v29
	v_add_u32_e32 v30, 0x41, v31
	v_cmp_gt_i32_e64 s[2:3], s11, v30
	s_and_b64 s[4:5], s[2:3], vcc
	v_cvt_f32_f16_e32 v45, v36
	v_cvt_f32_f16_sdwa v48, v36 dst_sel:DWORD dst_unused:UNUSED_PAD src0_sel:WORD_1
	s_and_b64 s[2:3], s[2:3], s[0:1]
	s_waitcnt vmcnt(5)
	v_cndmask_b32_e64 v49, 0, v92, s[4:5]
	v_cvt_f32_f16_e32 v61, v49
	v_add_f32_e32 v47, v98, v45
	v_add_f32_e32 v37, v37, v48
	v_cvt_f32_f16_sdwa v48, v49 dst_sel:DWORD dst_unused:UNUSED_PAD src0_sel:WORD_1
	v_max_f32_e32 v36, 0, v47
	v_add_f32_e32 v47, v42, v61
	v_cndmask_b32_e64 v45, 0, v93, s[4:5]
	v_add_f32_e32 v43, v43, v48
	v_max_f32_e32 v48, 0, v43
	s_waitcnt vmcnt(4)
	v_cndmask_b32_e64 v49, 0, v94, s[2:3]
	v_cvt_f32_f16_e32 v61, v49
	v_cndmask_b32_e64 v42, 0, v95, s[2:3]
	v_max_f32_e32 v47, 0, v47
	v_max_f32_e32 v37, 0, v37
	v_add_f32_e32 v43, v46, v61
	v_cvt_f32_f16_sdwa v61, v49 dst_sel:DWORD dst_unused:UNUSED_PAD src0_sel:WORD_1
	v_add_u32_e32 v46, 0x42, v31
	v_cmp_gt_i32_e64 s[2:3], s11, v46
	s_and_b64 s[4:5], s[2:3], vcc
	s_and_b64 s[2:3], s[2:3], s[0:1]
	v_add_f32_e32 v44, v44, v61
	v_max_f32_e32 v43, 0, v43
	v_max_f32_e32 v44, 0, v44
	;; [unrolled: 1-line block ×4, first 2 shown]
	s_waitcnt vmcnt(3)
	v_cndmask_b32_e64 v64, 0, v96, s[4:5]
	v_cvt_f32_f16_e32 v90, v64
	v_cvt_f32_f16_sdwa v64, v64 dst_sel:DWORD dst_unused:UNUSED_PAD src0_sel:WORD_1
	s_waitcnt vmcnt(2)
	v_cndmask_b32_e64 v83, 0, v83, s[2:3]
	v_cndmask_b32_e64 v61, 0, v84, s[2:3]
	v_cvt_f32_f16_e32 v84, v83
	v_add_f32_e32 v51, v51, v64
	v_cvt_f32_f16_sdwa v83, v83 dst_sel:DWORD dst_unused:UNUSED_PAD src0_sel:WORD_1
	v_cndmask_b32_e64 v49, 0, v97, s[4:5]
	v_add_f32_e32 v64, v58, v84
	v_add_u32_e32 v58, 0x43, v31
	v_cmp_gt_i32_e64 s[2:3], s11, v58
	s_and_b64 vcc, s[2:3], vcc
	s_waitcnt vmcnt(1)
	v_cndmask_b32_e32 v85, 0, v85, vcc
	v_cndmask_b32_e32 v84, 0, v86, vcc
	v_cvt_f32_f16_e32 v86, v85
	v_cvt_f32_f16_sdwa v85, v85 dst_sel:DWORD dst_unused:UNUSED_PAD src0_sel:WORD_1
	s_and_b64 vcc, s[2:3], s[0:1]
	v_add_f32_e32 v66, v66, v83
	v_add_f32_e32 v56, v56, v86
	;; [unrolled: 1-line block ×3, first 2 shown]
	s_waitcnt vmcnt(0)
	v_cndmask_b32_e32 v86, 0, v87, vcc
	v_cvt_f32_f16_e32 v87, v86
	v_cvt_f32_f16_sdwa v85, v86 dst_sel:DWORD dst_unused:UNUSED_PAD src0_sel:WORD_1
	v_max_f32_e32 v86, 0, v60
	v_max_f32_e32 v83, 0, v56
	v_add_f32_e32 v60, v69, v87
	v_max_f32_e32 v87, 0, v60
	v_add_f32_e32 v60, v68, v85
	v_cvt_f32_f16_sdwa v68, v73 dst_sel:DWORD dst_unused:UNUSED_PAD src0_sel:WORD_1
	v_cvt_f32_f16_e32 v69, v73
	v_max_f32_e32 v85, 0, v60
	v_mul_lo_u32 v60, v31, s24
	v_add_f32_e32 v41, v41, v68
	v_add_f32_e32 v40, v40, v69
	v_max_f32_e32 v40, 0, v40
	v_max_f32_e32 v41, 0, v41
	v_cvt_f16_f32_e32 v73, v75
	v_cvt_f16_f32_e32 v75, v80
	;; [unrolled: 1-line block ×4, first 2 shown]
	v_mad_u64_u32 v[40:41], s[0:1], v34, s25, v[60:61]
	v_cndmask_b32_e32 v56, 0, v88, vcc
	v_cmp_gt_i32_e32 vcc, s23, v34
	v_cmp_gt_i32_e64 s[2:3], s19, v31
	v_bfrev_b32_e32 v31, 1
	s_and_b64 s[0:1], s[2:3], vcc
	v_cndmask_b32_e64 v34, v31, 0, s[0:1]
	v_pack_b32_f16 v68, v73, v75
	v_pack_b32_f16 v69, v80, v69
	s_mov_b32 s11, s15
	v_lshl_add_u32 v34, v40, 1, v34
	buffer_store_dwordx2 v[68:69], v34, s[8:11], 0 offen
	v_cvt_f32_f16_sdwa v34, v63 dst_sel:DWORD dst_unused:UNUSED_PAD src0_sel:WORD_1
	v_cvt_f32_f16_e32 v41, v63
	v_cvt_f16_f32_e32 v60, v74
	v_cvt_f16_f32_e32 v63, v81
	v_add_f32_e32 v34, v39, v34
	v_add_f32_e32 v38, v38, v41
	v_max_f32_e32 v38, 0, v38
	v_max_f32_e32 v34, 0, v34
	v_cvt_f16_f32_e32 v34, v34
	v_cvt_f16_f32_e32 v39, v38
	v_pack_b32_f16 v38, v60, v63
	v_cmp_gt_i32_e64 s[0:1], s23, v52
	v_cvt_f32_f16_sdwa v52, v76 dst_sel:DWORD dst_unused:UNUSED_PAD src0_sel:WORD_1
	v_cvt_f32_f16_e32 v60, v76
	s_lshl_b32 s4, s25, 6
	s_and_b64 s[2:3], s[2:3], s[0:1]
	v_add_u32_e32 v41, s4, v40
	v_pack_b32_f16 v39, v39, v34
	v_cndmask_b32_e64 v34, v31, 0, s[2:3]
	v_lshl_add_u32 v34, v41, 1, v34
	v_add_f32_e32 v33, v33, v52
	v_add_f32_e32 v32, v32, v60
	buffer_store_dwordx2 v[38:39], v34, s[8:11], 0 offen
	v_add_u32_e32 v34, s24, v41
	v_cvt_f32_f16_sdwa v39, v54 dst_sel:DWORD dst_unused:UNUSED_PAD src0_sel:WORD_1
	v_cvt_f32_f16_e32 v41, v54
	v_max_f32_e32 v32, 0, v32
	v_max_f32_e32 v33, 0, v33
	v_cvt_f16_f32_e32 v33, v33
	v_cvt_f16_f32_e32 v52, v32
	;; [unrolled: 1-line block ×4, first 2 shown]
	v_add_f32_e32 v25, v25, v39
	v_add_f32_e32 v24, v24, v41
	v_cmp_gt_i32_e64 s[2:3], s19, v59
	v_max_f32_e32 v24, 0, v24
	v_max_f32_e32 v25, 0, v25
	v_pack_b32_f16 v33, v52, v33
	s_and_b64 s[6:7], s[2:3], s[0:1]
	v_cvt_f16_f32_e32 v52, v62
	v_cvt_f16_f32_e32 v54, v72
	;; [unrolled: 1-line block ×4, first 2 shown]
	v_cndmask_b32_e64 v38, v31, 0, s[6:7]
	v_pack_b32_f16 v32, v63, v68
	v_lshl_add_u32 v38, v34, 1, v38
	s_and_b64 s[2:3], s[2:3], vcc
	buffer_store_dwordx2 v[32:33], v38, s[8:11], 0 offen
	v_add_u32_e32 v32, s24, v40
	v_cndmask_b32_e64 v33, v31, 0, s[2:3]
	v_cmp_gt_i32_e64 s[2:3], s19, v55
	v_pack_b32_f16 v24, v52, v54
	v_pack_b32_f16 v25, v39, v25
	v_lshl_add_u32 v33, v32, 1, v33
	s_and_b64 s[6:7], s[2:3], vcc
	v_cvt_f32_f16_sdwa v38, v67 dst_sel:DWORD dst_unused:UNUSED_PAD src0_sel:WORD_1
	v_cvt_f32_f16_e32 v39, v67
	buffer_store_dwordx2 v[24:25], v33, s[8:11], 0 offen
	v_add_u32_e32 v24, s24, v32
	v_cndmask_b32_e64 v25, v31, 0, s[6:7]
	v_lshl_add_u32 v24, v24, 1, v25
	v_cvt_f32_f16_sdwa v25, v65 dst_sel:DWORD dst_unused:UNUSED_PAD src0_sel:WORD_1
	v_cvt_f32_f16_e32 v32, v65
	v_add_f32_e32 v19, v19, v38
	v_add_f32_e32 v18, v18, v39
	v_max_f32_e32 v18, 0, v18
	v_max_f32_e32 v19, 0, v19
	v_add_f32_e32 v23, v23, v25
	v_add_f32_e32 v22, v22, v32
	v_cvt_f16_f32_e32 v40, v78
	v_cvt_f16_f32_e32 v41, v79
	;; [unrolled: 1-line block ×4, first 2 shown]
	v_max_f32_e32 v22, 0, v22
	v_max_f32_e32 v23, 0, v23
	v_cvt_f16_f32_e32 v23, v23
	v_cvt_f16_f32_e32 v22, v22
	v_pack_b32_f16 v18, v40, v41
	v_pack_b32_f16 v19, v38, v19
	buffer_store_dwordx2 v[18:19], v24, s[8:11], 0 offen
	v_pack_b32_f16 v19, v22, v23
	v_cvt_f32_f16_sdwa v23, v77 dst_sel:DWORD dst_unused:UNUSED_PAD src0_sel:WORD_1
	v_cvt_f32_f16_e32 v25, v77
	v_cvt_f16_f32_e32 v33, v82
	v_cvt_f16_f32_e32 v38, v101
	v_add_f32_e32 v17, v17, v23
	v_add_f32_e32 v16, v16, v25
	v_max_f32_e32 v16, 0, v16
	v_max_f32_e32 v17, 0, v17
	v_cvt_f16_f32_e32 v17, v17
	v_cvt_f16_f32_e32 v23, v16
	s_and_b64 s[2:3], s[2:3], s[0:1]
	v_add_u32_e32 v24, s24, v34
	v_cndmask_b32_e64 v22, v31, 0, s[2:3]
	v_pack_b32_f16 v18, v33, v38
	v_lshl_add_u32 v22, v24, 1, v22
	buffer_store_dwordx2 v[18:19], v22, s[8:11], 0 offen
	v_pack_b32_f16 v17, v23, v17
	v_cvt_f32_f16_sdwa v22, v53 dst_sel:DWORD dst_unused:UNUSED_PAD src0_sel:WORD_1
	v_cvt_f32_f16_e32 v23, v53
	v_cvt_f16_f32_e32 v32, v89
	v_cvt_f16_f32_e32 v33, v102
	v_add_f32_e32 v11, v11, v22
	v_add_f32_e32 v10, v10, v23
	v_cmp_gt_i32_e64 s[2:3], s19, v57
	v_max_f32_e32 v10, 0, v10
	v_max_f32_e32 v11, 0, v11
	v_pack_b32_f16 v16, v32, v33
	s_and_b64 s[6:7], s[2:3], s[0:1]
	v_cvt_f16_f32_e32 v25, v70
	v_cvt_f16_f32_e32 v32, v71
	;; [unrolled: 1-line block ×4, first 2 shown]
	v_add_u32_e32 v18, s24, v24
	v_cndmask_b32_e64 v19, v31, 0, s[6:7]
	v_lshl_add_u32 v19, v18, 1, v19
	s_and_b64 s[2:3], s[2:3], vcc
	buffer_store_dwordx2 v[16:17], v19, s[8:11], 0 offen
	v_subrev_u32_e32 v16, s4, v18
	v_cndmask_b32_e64 v17, v31, 0, s[2:3]
	v_pack_b32_f16 v10, v25, v32
	v_pack_b32_f16 v11, v22, v11
	v_lshl_add_u32 v17, v16, 1, v17
	buffer_store_dwordx2 v[10:11], v17, s[8:11], 0 offen
	v_cvt_f32_f16_e32 v10, v84
	v_cvt_f32_f16_sdwa v11, v84 dst_sel:DWORD dst_unused:UNUSED_PAD src0_sel:WORD_1
	v_cmp_gt_i32_e64 s[2:3], s19, v58
	s_lshl_b32 s5, s24, 6
	v_add_f32_e32 v10, v14, v10
	v_add_f32_e32 v11, v15, v11
	v_max_f32_e32 v11, 0, v11
	v_max_f32_e32 v10, 0, v10
	v_cvt_f16_f32_e32 v14, v10
	v_cvt_f16_f32_e32 v11, v11
	s_and_b64 s[6:7], s[2:3], vcc
	v_add_u32_e32 v15, s5, v16
	v_cvt_f32_f16_sdwa v16, v56 dst_sel:DWORD dst_unused:UNUSED_PAD src0_sel:WORD_1
	v_pack_b32_f16 v11, v14, v11
	v_cndmask_b32_e64 v14, v31, 0, s[6:7]
	v_lshl_add_u32 v14, v15, 1, v14
	v_cvt_f32_f16_e32 v15, v56
	v_add_f32_e32 v16, v21, v16
	v_cvt_f16_f32_e32 v17, v83
	v_cvt_f16_f32_e32 v19, v86
	v_add_f32_e32 v15, v20, v15
	v_max_f32_e32 v16, 0, v16
	v_max_f32_e32 v15, 0, v15
	v_cvt_f16_f32_e32 v15, v15
	v_cvt_f16_f32_e32 v16, v16
	v_pack_b32_f16 v10, v17, v19
	s_and_b64 s[2:3], s[2:3], s[0:1]
	buffer_store_dwordx2 v[10:11], v14, s[8:11], 0 offen
	v_add_u32_e32 v14, s5, v18
	v_pack_b32_f16 v11, v15, v16
	v_cndmask_b32_e64 v15, v31, 0, s[2:3]
	v_lshl_add_u32 v14, v14, 1, v15
	v_cvt_f32_f16_sdwa v15, v61 dst_sel:DWORD dst_unused:UNUSED_PAD src0_sel:WORD_1
	v_cvt_f32_f16_e32 v16, v61
	v_cvt_f16_f32_e32 v17, v87
	v_cvt_f16_f32_e32 v19, v85
	v_add_f32_e32 v13, v13, v15
	v_add_f32_e32 v12, v12, v16
	v_max_f32_e32 v12, 0, v12
	v_max_f32_e32 v13, 0, v13
	v_cvt_f16_f32_e32 v13, v13
	v_cvt_f16_f32_e32 v12, v12
	v_pack_b32_f16 v10, v17, v19
	buffer_store_dwordx2 v[10:11], v14, s[8:11], 0 offen
	v_cvt_f32_f16_e32 v15, v49
	v_pack_b32_f16 v11, v12, v13
	v_cvt_f32_f16_sdwa v13, v49 dst_sel:DWORD dst_unused:UNUSED_PAD src0_sel:WORD_1
	v_max_f32_e32 v64, 0, v64
	v_max_f32_e32 v66, 0, v66
	v_cvt_f16_f32_e32 v17, v64
	v_cvt_f16_f32_e32 v18, v66
	v_add_f32_e32 v50, v50, v90
	v_add_f32_e32 v9, v9, v13
	;; [unrolled: 1-line block ×3, first 2 shown]
	v_max_f32_e32 v50, 0, v50
	v_max_f32_e32 v51, 0, v51
	v_cmp_ge_i32_e64 s[2:3], s19, v58
	v_max_f32_e32 v8, 0, v8
	v_max_f32_e32 v9, 0, v9
	v_pack_b32_f16 v10, v17, v18
	s_and_b64 s[2:3], s[2:3], s[0:1]
	v_cvt_f16_f32_e32 v16, v50
	v_cvt_f16_f32_e32 v17, v51
	;; [unrolled: 1-line block ×4, first 2 shown]
	v_add_u32_e32 v14, s5, v24
	v_cndmask_b32_e64 v12, v31, 0, s[2:3]
	v_cmp_gt_i32_e64 s[2:3], s19, v46
	v_lshl_add_u32 v12, v14, 1, v12
	s_and_b64 s[2:3], s[2:3], vcc
	buffer_store_dwordx2 v[10:11], v12, s[8:11], 0 offen
	v_subrev_u32_e32 v10, s4, v14
	v_cndmask_b32_e64 v11, v31, 0, s[2:3]
	v_pack_b32_f16 v8, v16, v17
	v_pack_b32_f16 v9, v13, v9
	v_lshl_add_u32 v11, v10, 1, v11
	v_cvt_f32_f16_sdwa v12, v45 dst_sel:DWORD dst_unused:UNUSED_PAD src0_sel:WORD_1
	v_cvt_f32_f16_e32 v13, v45
	buffer_store_dwordx2 v[8:9], v11, s[8:11], 0 offen
	v_subrev_u32_e32 v8, s24, v10
	v_cvt_f32_f16_sdwa v10, v42 dst_sel:DWORD dst_unused:UNUSED_PAD src0_sel:WORD_1
	v_cvt_f32_f16_e32 v11, v42
	v_add_f32_e32 v5, v5, v12
	v_add_f32_e32 v4, v4, v13
	v_max_f32_e32 v4, 0, v4
	v_max_f32_e32 v5, 0, v5
	v_add_f32_e32 v7, v7, v10
	v_add_f32_e32 v6, v6, v11
	v_cvt_f16_f32_e32 v14, v47
	v_cvt_f16_f32_e32 v15, v48
	;; [unrolled: 1-line block ×4, first 2 shown]
	v_max_f32_e32 v6, 0, v6
	v_max_f32_e32 v7, 0, v7
	v_cmp_ge_i32_e64 s[2:3], s19, v46
	v_cvt_f16_f32_e32 v7, v7
	v_cvt_f16_f32_e32 v6, v6
	s_and_b64 s[2:3], s[2:3], vcc
	v_cndmask_b32_e64 v9, v31, 0, s[2:3]
	v_pack_b32_f16 v4, v14, v15
	v_pack_b32_f16 v5, v12, v5
	v_lshl_add_u32 v9, v8, 1, v9
	buffer_store_dwordx2 v[4:5], v9, s[8:11], 0 offen
	v_pack_b32_f16 v5, v6, v7
	v_cvt_f32_f16_sdwa v7, v35 dst_sel:DWORD dst_unused:UNUSED_PAD src0_sel:WORD_1
	v_cvt_f32_f16_e32 v9, v35
	v_cvt_f16_f32_e32 v12, v43
	v_cvt_f16_f32_e32 v13, v44
	v_add_f32_e32 v3, v3, v7
	v_add_f32_e32 v2, v2, v9
	v_max_f32_e32 v2, 0, v2
	v_max_f32_e32 v3, 0, v3
	v_cmp_gt_i32_e64 s[2:3], s19, v30
	v_cvt_f16_f32_e32 v3, v3
	v_cvt_f16_f32_e32 v7, v2
	s_and_b64 s[2:3], s[2:3], s[0:1]
	v_add_u32_e32 v8, s4, v8
	v_cndmask_b32_e64 v6, v31, 0, s[2:3]
	v_pack_b32_f16 v4, v12, v13
	v_lshl_add_u32 v6, v8, 1, v6
	buffer_store_dwordx2 v[4:5], v6, s[8:11], 0 offen
	v_pack_b32_f16 v3, v7, v3
	v_cvt_f32_f16_sdwa v6, v27 dst_sel:DWORD dst_unused:UNUSED_PAD src0_sel:WORD_1
	v_cvt_f32_f16_e32 v7, v27
	v_cvt_f16_f32_e32 v10, v36
	v_cvt_f16_f32_e32 v11, v37
	v_add_f32_e32 v1, v1, v6
	v_add_f32_e32 v0, v0, v7
	v_cmp_ge_i32_e64 s[2:3], s19, v30
	v_max_f32_e32 v0, 0, v0
	v_max_f32_e32 v1, 0, v1
	v_subrev_u32_e32 v4, s24, v8
	s_and_b64 s[0:1], s[2:3], s[0:1]
	v_cvt_f16_f32_e32 v8, v28
	v_cvt_f16_f32_e32 v9, v29
	;; [unrolled: 1-line block ×4, first 2 shown]
	v_cndmask_b32_e64 v5, v31, 0, s[0:1]
	v_cmp_gt_i32_e64 s[0:1], s19, v26
	v_pack_b32_f16 v2, v10, v11
	v_lshl_add_u32 v5, v4, 1, v5
	s_and_b64 s[0:1], s[0:1], vcc
	buffer_store_dwordx2 v[2:3], v5, s[8:11], 0 offen
	v_subrev_u32_e32 v2, s4, v4
	v_cndmask_b32_e64 v3, v31, 0, s[0:1]
	v_pack_b32_f16 v0, v8, v9
	v_pack_b32_f16 v1, v6, v1
	v_lshl_add_u32 v2, v2, 1, v3
	buffer_store_dwordx2 v[0:1], v2, s[8:11], 0 offen
	s_endpgm
	.section	.rodata,"a",@progbits
	.p2align	6, 0x0
	.amdhsa_kernel _ZN2ck16tensor_operation6device12_GLOBAL__N_137kernel_grouped_conv_fwd_dl_multiple_dINS_32GridwiseGemmDlMultipleD_km_kn_mnILi256EDF16_fNS_5TupleIJDF16_EEEDF16_NS0_12element_wise11PassThroughES8_NS7_7AddReluELNS_25InMemoryDataOperationEnumE0ENS_16TensorDescriptorINS5_IJNS_5EmbedINS5_IJiiiiiEEESD_Lb0EEENS_11PassThroughIiEENS_3PadIiiiLb0EEESI_SI_SG_SG_NSC_INS5_IJiiEEESJ_Lb0EEESK_SK_SG_NS_23Merge_v2_magic_divisionINS5_IJiiiiEEEEESN_NS_8RightPadIiiLb0EEESP_NS_7UnMergeISJ_Lb0EEESG_EEENS5_IJNS_8SequenceIJLi0EEEENST_IJLi1EEEENST_IJLi2EEEENST_IJLi3EEEENST_IJLi4EEEENST_IJLi5EEEENST_IJLi6EEEENST_IJLi7EEEENST_IJLi8EEEENST_IJLi9EEEENST_IJLi10EEEENST_IJLi11ELi13ELi15ELi17EEEENST_IJLi12ELi14ELi16ELi18EEEENST_IJLi19EEEENST_IJLi20EEEENST_IJLi22EEEENST_IJLi21EEEEEEENS5_IJNST_IJLi1ELi2ELi3ELi4ELi5EEEES10_S11_S12_S13_S14_NST_IJLi11EEEENST_IJLi12ELi13EEEENST_IJLi14ELi15EEEENST_IJLi16ELi17EEEENST_IJLi18EEEES17_S18_S1A_S19_NST_IJLi23ELi24EEEENST_IJLi25EEEEEEENST_IJLi23ELi25ELi24EEEElEENSB_INS5_IJSR_SP_SP_SR_SG_EEENS5_IJSU_SV_SW_SY_SX_EEENS5_IJNST_IJLi1ELi2EEEESX_SY_NST_IJLi5ELi6EEEES11_EEENST_IJLi5ELi7ELi6EEEElEENSB_INS5_IJSK_SP_SP_EEENS5_IJSU_SV_SW_EEENS5_IJS1P_SX_SY_EEENST_IJLi3ELi4EEEElEELi128ELi128ELi16ELi2ELi4ELi4ELi1ENST_IJLi8ELi2EEEES1Z_NST_IJLi8ELi1ELi1ELi2EEEENST_IJLi2ELi1ELi128ELi1EEEENST_IJLi1ELi2ELi0ELi3EEEES22_NST_IJLi4ELi1ELi1ELi2EEEES22_NST_IJLi1ELi1ELi1ELi2EEEES20_S21_S22_S22_S23_S22_S24_NST_IJLi0ELi1ELi2ELi3ELi4ELi5EEEELi5ELi4EEEDF16_NS5_IJPKDF16_EEEDF16_S8_S8_S9_NSB_INS5_IJSE_SG_SI_SI_SI_SG_SG_SK_SK_SK_SG_SN_SN_SP_SP_SR_SG_SG_NSQ_INS5_IJiNS_17integral_constantIiLi128EEEEEELb0EEENSF_INS2A_IiLi2EEEEEEEENS5_IJSU_SV_SW_SX_SY_SZ_S10_S11_S12_S13_S14_S15_S16_S17_S18_S19_S1A_NST_IJLi23EEEES1J_NST_IJLi24EEEEEEENS5_IJS1C_S10_S11_S12_S13_S14_S1D_S1E_S1F_S1G_S1H_S17_S18_S1A_S19_S1I_S1J_NST_IJLi26EEEENST_IJLi27ELi28EEEENST_IJLi29EEEEEEENST_IJLi26ELi27ELi28ELi29EEEElEENSB_INS5_IJSR_SP_SP_SR_SG_SG_S2D_S2F_EEENS5_IJSU_SV_SW_SY_SX_SZ_S11_S10_EEENS5_IJS1P_SX_SY_S1Q_S11_S12_NST_IJLi9ELi10EEEES1D_EEENST_IJLi8ELi9ELi10ELi11EEEElEENS5_IJNSB_INS5_IJSK_SP_SP_NSQ_INS5_IJiS2E_NS2A_IiLi64EEEEEELb0EEES2Y_EEENS5_IJSU_SV_SW_SX_SY_EEENS5_IJS1P_SX_SY_NST_IJLi5ELi6ELi7EEEENST_IJLi8ELi9ELi10EEEEEEENST_IJLi5ELi6ELi7ELi8ELi9ELi10EEEElEEEEES35_NS_31BlockToCTileMap_M00_N00_M01_N01ILi128ELi128ES1Y_Lb0EEENS1_30ComputePtrOffsetOfStridedBatchILi1ELi1ELi1EvEELb1ELb0EEEvPKT0_S3D_T1_PT2_T3_T4_T5_iT6_T7_T8_T9_T10_T11_
		.amdhsa_group_segment_fixed_size 32768
		.amdhsa_private_segment_fixed_size 136
		.amdhsa_kernarg_size 1024
		.amdhsa_user_sgpr_count 6
		.amdhsa_user_sgpr_private_segment_buffer 1
		.amdhsa_user_sgpr_dispatch_ptr 0
		.amdhsa_user_sgpr_queue_ptr 0
		.amdhsa_user_sgpr_kernarg_segment_ptr 1
		.amdhsa_user_sgpr_dispatch_id 0
		.amdhsa_user_sgpr_flat_scratch_init 0
		.amdhsa_user_sgpr_private_segment_size 0
		.amdhsa_uses_dynamic_stack 0
		.amdhsa_system_sgpr_private_segment_wavefront_offset 1
		.amdhsa_system_sgpr_workgroup_id_x 1
		.amdhsa_system_sgpr_workgroup_id_y 0
		.amdhsa_system_sgpr_workgroup_id_z 0
		.amdhsa_system_sgpr_workgroup_info 0
		.amdhsa_system_vgpr_workitem_id 0
		.amdhsa_next_free_vgpr 128
		.amdhsa_next_free_sgpr 98
		.amdhsa_reserve_vcc 1
		.amdhsa_reserve_flat_scratch 0
		.amdhsa_float_round_mode_32 0
		.amdhsa_float_round_mode_16_64 0
		.amdhsa_float_denorm_mode_32 3
		.amdhsa_float_denorm_mode_16_64 3
		.amdhsa_dx10_clamp 1
		.amdhsa_ieee_mode 1
		.amdhsa_fp16_overflow 0
		.amdhsa_exception_fp_ieee_invalid_op 0
		.amdhsa_exception_fp_denorm_src 0
		.amdhsa_exception_fp_ieee_div_zero 0
		.amdhsa_exception_fp_ieee_overflow 0
		.amdhsa_exception_fp_ieee_underflow 0
		.amdhsa_exception_fp_ieee_inexact 0
		.amdhsa_exception_int_div_zero 0
	.end_amdhsa_kernel
	.section	.text._ZN2ck16tensor_operation6device12_GLOBAL__N_137kernel_grouped_conv_fwd_dl_multiple_dINS_32GridwiseGemmDlMultipleD_km_kn_mnILi256EDF16_fNS_5TupleIJDF16_EEEDF16_NS0_12element_wise11PassThroughES8_NS7_7AddReluELNS_25InMemoryDataOperationEnumE0ENS_16TensorDescriptorINS5_IJNS_5EmbedINS5_IJiiiiiEEESD_Lb0EEENS_11PassThroughIiEENS_3PadIiiiLb0EEESI_SI_SG_SG_NSC_INS5_IJiiEEESJ_Lb0EEESK_SK_SG_NS_23Merge_v2_magic_divisionINS5_IJiiiiEEEEESN_NS_8RightPadIiiLb0EEESP_NS_7UnMergeISJ_Lb0EEESG_EEENS5_IJNS_8SequenceIJLi0EEEENST_IJLi1EEEENST_IJLi2EEEENST_IJLi3EEEENST_IJLi4EEEENST_IJLi5EEEENST_IJLi6EEEENST_IJLi7EEEENST_IJLi8EEEENST_IJLi9EEEENST_IJLi10EEEENST_IJLi11ELi13ELi15ELi17EEEENST_IJLi12ELi14ELi16ELi18EEEENST_IJLi19EEEENST_IJLi20EEEENST_IJLi22EEEENST_IJLi21EEEEEEENS5_IJNST_IJLi1ELi2ELi3ELi4ELi5EEEES10_S11_S12_S13_S14_NST_IJLi11EEEENST_IJLi12ELi13EEEENST_IJLi14ELi15EEEENST_IJLi16ELi17EEEENST_IJLi18EEEES17_S18_S1A_S19_NST_IJLi23ELi24EEEENST_IJLi25EEEEEEENST_IJLi23ELi25ELi24EEEElEENSB_INS5_IJSR_SP_SP_SR_SG_EEENS5_IJSU_SV_SW_SY_SX_EEENS5_IJNST_IJLi1ELi2EEEESX_SY_NST_IJLi5ELi6EEEES11_EEENST_IJLi5ELi7ELi6EEEElEENSB_INS5_IJSK_SP_SP_EEENS5_IJSU_SV_SW_EEENS5_IJS1P_SX_SY_EEENST_IJLi3ELi4EEEElEELi128ELi128ELi16ELi2ELi4ELi4ELi1ENST_IJLi8ELi2EEEES1Z_NST_IJLi8ELi1ELi1ELi2EEEENST_IJLi2ELi1ELi128ELi1EEEENST_IJLi1ELi2ELi0ELi3EEEES22_NST_IJLi4ELi1ELi1ELi2EEEES22_NST_IJLi1ELi1ELi1ELi2EEEES20_S21_S22_S22_S23_S22_S24_NST_IJLi0ELi1ELi2ELi3ELi4ELi5EEEELi5ELi4EEEDF16_NS5_IJPKDF16_EEEDF16_S8_S8_S9_NSB_INS5_IJSE_SG_SI_SI_SI_SG_SG_SK_SK_SK_SG_SN_SN_SP_SP_SR_SG_SG_NSQ_INS5_IJiNS_17integral_constantIiLi128EEEEEELb0EEENSF_INS2A_IiLi2EEEEEEEENS5_IJSU_SV_SW_SX_SY_SZ_S10_S11_S12_S13_S14_S15_S16_S17_S18_S19_S1A_NST_IJLi23EEEES1J_NST_IJLi24EEEEEEENS5_IJS1C_S10_S11_S12_S13_S14_S1D_S1E_S1F_S1G_S1H_S17_S18_S1A_S19_S1I_S1J_NST_IJLi26EEEENST_IJLi27ELi28EEEENST_IJLi29EEEEEEENST_IJLi26ELi27ELi28ELi29EEEElEENSB_INS5_IJSR_SP_SP_SR_SG_SG_S2D_S2F_EEENS5_IJSU_SV_SW_SY_SX_SZ_S11_S10_EEENS5_IJS1P_SX_SY_S1Q_S11_S12_NST_IJLi9ELi10EEEES1D_EEENST_IJLi8ELi9ELi10ELi11EEEElEENS5_IJNSB_INS5_IJSK_SP_SP_NSQ_INS5_IJiS2E_NS2A_IiLi64EEEEEELb0EEES2Y_EEENS5_IJSU_SV_SW_SX_SY_EEENS5_IJS1P_SX_SY_NST_IJLi5ELi6ELi7EEEENST_IJLi8ELi9ELi10EEEEEEENST_IJLi5ELi6ELi7ELi8ELi9ELi10EEEElEEEEES35_NS_31BlockToCTileMap_M00_N00_M01_N01ILi128ELi128ES1Y_Lb0EEENS1_30ComputePtrOffsetOfStridedBatchILi1ELi1ELi1EvEELb1ELb0EEEvPKT0_S3D_T1_PT2_T3_T4_T5_iT6_T7_T8_T9_T10_T11_,"axG",@progbits,_ZN2ck16tensor_operation6device12_GLOBAL__N_137kernel_grouped_conv_fwd_dl_multiple_dINS_32GridwiseGemmDlMultipleD_km_kn_mnILi256EDF16_fNS_5TupleIJDF16_EEEDF16_NS0_12element_wise11PassThroughES8_NS7_7AddReluELNS_25InMemoryDataOperationEnumE0ENS_16TensorDescriptorINS5_IJNS_5EmbedINS5_IJiiiiiEEESD_Lb0EEENS_11PassThroughIiEENS_3PadIiiiLb0EEESI_SI_SG_SG_NSC_INS5_IJiiEEESJ_Lb0EEESK_SK_SG_NS_23Merge_v2_magic_divisionINS5_IJiiiiEEEEESN_NS_8RightPadIiiLb0EEESP_NS_7UnMergeISJ_Lb0EEESG_EEENS5_IJNS_8SequenceIJLi0EEEENST_IJLi1EEEENST_IJLi2EEEENST_IJLi3EEEENST_IJLi4EEEENST_IJLi5EEEENST_IJLi6EEEENST_IJLi7EEEENST_IJLi8EEEENST_IJLi9EEEENST_IJLi10EEEENST_IJLi11ELi13ELi15ELi17EEEENST_IJLi12ELi14ELi16ELi18EEEENST_IJLi19EEEENST_IJLi20EEEENST_IJLi22EEEENST_IJLi21EEEEEEENS5_IJNST_IJLi1ELi2ELi3ELi4ELi5EEEES10_S11_S12_S13_S14_NST_IJLi11EEEENST_IJLi12ELi13EEEENST_IJLi14ELi15EEEENST_IJLi16ELi17EEEENST_IJLi18EEEES17_S18_S1A_S19_NST_IJLi23ELi24EEEENST_IJLi25EEEEEEENST_IJLi23ELi25ELi24EEEElEENSB_INS5_IJSR_SP_SP_SR_SG_EEENS5_IJSU_SV_SW_SY_SX_EEENS5_IJNST_IJLi1ELi2EEEESX_SY_NST_IJLi5ELi6EEEES11_EEENST_IJLi5ELi7ELi6EEEElEENSB_INS5_IJSK_SP_SP_EEENS5_IJSU_SV_SW_EEENS5_IJS1P_SX_SY_EEENST_IJLi3ELi4EEEElEELi128ELi128ELi16ELi2ELi4ELi4ELi1ENST_IJLi8ELi2EEEES1Z_NST_IJLi8ELi1ELi1ELi2EEEENST_IJLi2ELi1ELi128ELi1EEEENST_IJLi1ELi2ELi0ELi3EEEES22_NST_IJLi4ELi1ELi1ELi2EEEES22_NST_IJLi1ELi1ELi1ELi2EEEES20_S21_S22_S22_S23_S22_S24_NST_IJLi0ELi1ELi2ELi3ELi4ELi5EEEELi5ELi4EEEDF16_NS5_IJPKDF16_EEEDF16_S8_S8_S9_NSB_INS5_IJSE_SG_SI_SI_SI_SG_SG_SK_SK_SK_SG_SN_SN_SP_SP_SR_SG_SG_NSQ_INS5_IJiNS_17integral_constantIiLi128EEEEEELb0EEENSF_INS2A_IiLi2EEEEEEEENS5_IJSU_SV_SW_SX_SY_SZ_S10_S11_S12_S13_S14_S15_S16_S17_S18_S19_S1A_NST_IJLi23EEEES1J_NST_IJLi24EEEEEEENS5_IJS1C_S10_S11_S12_S13_S14_S1D_S1E_S1F_S1G_S1H_S17_S18_S1A_S19_S1I_S1J_NST_IJLi26EEEENST_IJLi27ELi28EEEENST_IJLi29EEEEEEENST_IJLi26ELi27ELi28ELi29EEEElEENSB_INS5_IJSR_SP_SP_SR_SG_SG_S2D_S2F_EEENS5_IJSU_SV_SW_SY_SX_SZ_S11_S10_EEENS5_IJS1P_SX_SY_S1Q_S11_S12_NST_IJLi9ELi10EEEES1D_EEENST_IJLi8ELi9ELi10ELi11EEEElEENS5_IJNSB_INS5_IJSK_SP_SP_NSQ_INS5_IJiS2E_NS2A_IiLi64EEEEEELb0EEES2Y_EEENS5_IJSU_SV_SW_SX_SY_EEENS5_IJS1P_SX_SY_NST_IJLi5ELi6ELi7EEEENST_IJLi8ELi9ELi10EEEEEEENST_IJLi5ELi6ELi7ELi8ELi9ELi10EEEElEEEEES35_NS_31BlockToCTileMap_M00_N00_M01_N01ILi128ELi128ES1Y_Lb0EEENS1_30ComputePtrOffsetOfStridedBatchILi1ELi1ELi1EvEELb1ELb0EEEvPKT0_S3D_T1_PT2_T3_T4_T5_iT6_T7_T8_T9_T10_T11_,comdat
.Lfunc_end10:
	.size	_ZN2ck16tensor_operation6device12_GLOBAL__N_137kernel_grouped_conv_fwd_dl_multiple_dINS_32GridwiseGemmDlMultipleD_km_kn_mnILi256EDF16_fNS_5TupleIJDF16_EEEDF16_NS0_12element_wise11PassThroughES8_NS7_7AddReluELNS_25InMemoryDataOperationEnumE0ENS_16TensorDescriptorINS5_IJNS_5EmbedINS5_IJiiiiiEEESD_Lb0EEENS_11PassThroughIiEENS_3PadIiiiLb0EEESI_SI_SG_SG_NSC_INS5_IJiiEEESJ_Lb0EEESK_SK_SG_NS_23Merge_v2_magic_divisionINS5_IJiiiiEEEEESN_NS_8RightPadIiiLb0EEESP_NS_7UnMergeISJ_Lb0EEESG_EEENS5_IJNS_8SequenceIJLi0EEEENST_IJLi1EEEENST_IJLi2EEEENST_IJLi3EEEENST_IJLi4EEEENST_IJLi5EEEENST_IJLi6EEEENST_IJLi7EEEENST_IJLi8EEEENST_IJLi9EEEENST_IJLi10EEEENST_IJLi11ELi13ELi15ELi17EEEENST_IJLi12ELi14ELi16ELi18EEEENST_IJLi19EEEENST_IJLi20EEEENST_IJLi22EEEENST_IJLi21EEEEEEENS5_IJNST_IJLi1ELi2ELi3ELi4ELi5EEEES10_S11_S12_S13_S14_NST_IJLi11EEEENST_IJLi12ELi13EEEENST_IJLi14ELi15EEEENST_IJLi16ELi17EEEENST_IJLi18EEEES17_S18_S1A_S19_NST_IJLi23ELi24EEEENST_IJLi25EEEEEEENST_IJLi23ELi25ELi24EEEElEENSB_INS5_IJSR_SP_SP_SR_SG_EEENS5_IJSU_SV_SW_SY_SX_EEENS5_IJNST_IJLi1ELi2EEEESX_SY_NST_IJLi5ELi6EEEES11_EEENST_IJLi5ELi7ELi6EEEElEENSB_INS5_IJSK_SP_SP_EEENS5_IJSU_SV_SW_EEENS5_IJS1P_SX_SY_EEENST_IJLi3ELi4EEEElEELi128ELi128ELi16ELi2ELi4ELi4ELi1ENST_IJLi8ELi2EEEES1Z_NST_IJLi8ELi1ELi1ELi2EEEENST_IJLi2ELi1ELi128ELi1EEEENST_IJLi1ELi2ELi0ELi3EEEES22_NST_IJLi4ELi1ELi1ELi2EEEES22_NST_IJLi1ELi1ELi1ELi2EEEES20_S21_S22_S22_S23_S22_S24_NST_IJLi0ELi1ELi2ELi3ELi4ELi5EEEELi5ELi4EEEDF16_NS5_IJPKDF16_EEEDF16_S8_S8_S9_NSB_INS5_IJSE_SG_SI_SI_SI_SG_SG_SK_SK_SK_SG_SN_SN_SP_SP_SR_SG_SG_NSQ_INS5_IJiNS_17integral_constantIiLi128EEEEEELb0EEENSF_INS2A_IiLi2EEEEEEEENS5_IJSU_SV_SW_SX_SY_SZ_S10_S11_S12_S13_S14_S15_S16_S17_S18_S19_S1A_NST_IJLi23EEEES1J_NST_IJLi24EEEEEEENS5_IJS1C_S10_S11_S12_S13_S14_S1D_S1E_S1F_S1G_S1H_S17_S18_S1A_S19_S1I_S1J_NST_IJLi26EEEENST_IJLi27ELi28EEEENST_IJLi29EEEEEEENST_IJLi26ELi27ELi28ELi29EEEElEENSB_INS5_IJSR_SP_SP_SR_SG_SG_S2D_S2F_EEENS5_IJSU_SV_SW_SY_SX_SZ_S11_S10_EEENS5_IJS1P_SX_SY_S1Q_S11_S12_NST_IJLi9ELi10EEEES1D_EEENST_IJLi8ELi9ELi10ELi11EEEElEENS5_IJNSB_INS5_IJSK_SP_SP_NSQ_INS5_IJiS2E_NS2A_IiLi64EEEEEELb0EEES2Y_EEENS5_IJSU_SV_SW_SX_SY_EEENS5_IJS1P_SX_SY_NST_IJLi5ELi6ELi7EEEENST_IJLi8ELi9ELi10EEEEEEENST_IJLi5ELi6ELi7ELi8ELi9ELi10EEEElEEEEES35_NS_31BlockToCTileMap_M00_N00_M01_N01ILi128ELi128ES1Y_Lb0EEENS1_30ComputePtrOffsetOfStridedBatchILi1ELi1ELi1EvEELb1ELb0EEEvPKT0_S3D_T1_PT2_T3_T4_T5_iT6_T7_T8_T9_T10_T11_, .Lfunc_end10-_ZN2ck16tensor_operation6device12_GLOBAL__N_137kernel_grouped_conv_fwd_dl_multiple_dINS_32GridwiseGemmDlMultipleD_km_kn_mnILi256EDF16_fNS_5TupleIJDF16_EEEDF16_NS0_12element_wise11PassThroughES8_NS7_7AddReluELNS_25InMemoryDataOperationEnumE0ENS_16TensorDescriptorINS5_IJNS_5EmbedINS5_IJiiiiiEEESD_Lb0EEENS_11PassThroughIiEENS_3PadIiiiLb0EEESI_SI_SG_SG_NSC_INS5_IJiiEEESJ_Lb0EEESK_SK_SG_NS_23Merge_v2_magic_divisionINS5_IJiiiiEEEEESN_NS_8RightPadIiiLb0EEESP_NS_7UnMergeISJ_Lb0EEESG_EEENS5_IJNS_8SequenceIJLi0EEEENST_IJLi1EEEENST_IJLi2EEEENST_IJLi3EEEENST_IJLi4EEEENST_IJLi5EEEENST_IJLi6EEEENST_IJLi7EEEENST_IJLi8EEEENST_IJLi9EEEENST_IJLi10EEEENST_IJLi11ELi13ELi15ELi17EEEENST_IJLi12ELi14ELi16ELi18EEEENST_IJLi19EEEENST_IJLi20EEEENST_IJLi22EEEENST_IJLi21EEEEEEENS5_IJNST_IJLi1ELi2ELi3ELi4ELi5EEEES10_S11_S12_S13_S14_NST_IJLi11EEEENST_IJLi12ELi13EEEENST_IJLi14ELi15EEEENST_IJLi16ELi17EEEENST_IJLi18EEEES17_S18_S1A_S19_NST_IJLi23ELi24EEEENST_IJLi25EEEEEEENST_IJLi23ELi25ELi24EEEElEENSB_INS5_IJSR_SP_SP_SR_SG_EEENS5_IJSU_SV_SW_SY_SX_EEENS5_IJNST_IJLi1ELi2EEEESX_SY_NST_IJLi5ELi6EEEES11_EEENST_IJLi5ELi7ELi6EEEElEENSB_INS5_IJSK_SP_SP_EEENS5_IJSU_SV_SW_EEENS5_IJS1P_SX_SY_EEENST_IJLi3ELi4EEEElEELi128ELi128ELi16ELi2ELi4ELi4ELi1ENST_IJLi8ELi2EEEES1Z_NST_IJLi8ELi1ELi1ELi2EEEENST_IJLi2ELi1ELi128ELi1EEEENST_IJLi1ELi2ELi0ELi3EEEES22_NST_IJLi4ELi1ELi1ELi2EEEES22_NST_IJLi1ELi1ELi1ELi2EEEES20_S21_S22_S22_S23_S22_S24_NST_IJLi0ELi1ELi2ELi3ELi4ELi5EEEELi5ELi4EEEDF16_NS5_IJPKDF16_EEEDF16_S8_S8_S9_NSB_INS5_IJSE_SG_SI_SI_SI_SG_SG_SK_SK_SK_SG_SN_SN_SP_SP_SR_SG_SG_NSQ_INS5_IJiNS_17integral_constantIiLi128EEEEEELb0EEENSF_INS2A_IiLi2EEEEEEEENS5_IJSU_SV_SW_SX_SY_SZ_S10_S11_S12_S13_S14_S15_S16_S17_S18_S19_S1A_NST_IJLi23EEEES1J_NST_IJLi24EEEEEEENS5_IJS1C_S10_S11_S12_S13_S14_S1D_S1E_S1F_S1G_S1H_S17_S18_S1A_S19_S1I_S1J_NST_IJLi26EEEENST_IJLi27ELi28EEEENST_IJLi29EEEEEEENST_IJLi26ELi27ELi28ELi29EEEElEENSB_INS5_IJSR_SP_SP_SR_SG_SG_S2D_S2F_EEENS5_IJSU_SV_SW_SY_SX_SZ_S11_S10_EEENS5_IJS1P_SX_SY_S1Q_S11_S12_NST_IJLi9ELi10EEEES1D_EEENST_IJLi8ELi9ELi10ELi11EEEElEENS5_IJNSB_INS5_IJSK_SP_SP_NSQ_INS5_IJiS2E_NS2A_IiLi64EEEEEELb0EEES2Y_EEENS5_IJSU_SV_SW_SX_SY_EEENS5_IJS1P_SX_SY_NST_IJLi5ELi6ELi7EEEENST_IJLi8ELi9ELi10EEEEEEENST_IJLi5ELi6ELi7ELi8ELi9ELi10EEEElEEEEES35_NS_31BlockToCTileMap_M00_N00_M01_N01ILi128ELi128ES1Y_Lb0EEENS1_30ComputePtrOffsetOfStridedBatchILi1ELi1ELi1EvEELb1ELb0EEEvPKT0_S3D_T1_PT2_T3_T4_T5_iT6_T7_T8_T9_T10_T11_
                                        ; -- End function
	.set _ZN2ck16tensor_operation6device12_GLOBAL__N_137kernel_grouped_conv_fwd_dl_multiple_dINS_32GridwiseGemmDlMultipleD_km_kn_mnILi256EDF16_fNS_5TupleIJDF16_EEEDF16_NS0_12element_wise11PassThroughES8_NS7_7AddReluELNS_25InMemoryDataOperationEnumE0ENS_16TensorDescriptorINS5_IJNS_5EmbedINS5_IJiiiiiEEESD_Lb0EEENS_11PassThroughIiEENS_3PadIiiiLb0EEESI_SI_SG_SG_NSC_INS5_IJiiEEESJ_Lb0EEESK_SK_SG_NS_23Merge_v2_magic_divisionINS5_IJiiiiEEEEESN_NS_8RightPadIiiLb0EEESP_NS_7UnMergeISJ_Lb0EEESG_EEENS5_IJNS_8SequenceIJLi0EEEENST_IJLi1EEEENST_IJLi2EEEENST_IJLi3EEEENST_IJLi4EEEENST_IJLi5EEEENST_IJLi6EEEENST_IJLi7EEEENST_IJLi8EEEENST_IJLi9EEEENST_IJLi10EEEENST_IJLi11ELi13ELi15ELi17EEEENST_IJLi12ELi14ELi16ELi18EEEENST_IJLi19EEEENST_IJLi20EEEENST_IJLi22EEEENST_IJLi21EEEEEEENS5_IJNST_IJLi1ELi2ELi3ELi4ELi5EEEES10_S11_S12_S13_S14_NST_IJLi11EEEENST_IJLi12ELi13EEEENST_IJLi14ELi15EEEENST_IJLi16ELi17EEEENST_IJLi18EEEES17_S18_S1A_S19_NST_IJLi23ELi24EEEENST_IJLi25EEEEEEENST_IJLi23ELi25ELi24EEEElEENSB_INS5_IJSR_SP_SP_SR_SG_EEENS5_IJSU_SV_SW_SY_SX_EEENS5_IJNST_IJLi1ELi2EEEESX_SY_NST_IJLi5ELi6EEEES11_EEENST_IJLi5ELi7ELi6EEEElEENSB_INS5_IJSK_SP_SP_EEENS5_IJSU_SV_SW_EEENS5_IJS1P_SX_SY_EEENST_IJLi3ELi4EEEElEELi128ELi128ELi16ELi2ELi4ELi4ELi1ENST_IJLi8ELi2EEEES1Z_NST_IJLi8ELi1ELi1ELi2EEEENST_IJLi2ELi1ELi128ELi1EEEENST_IJLi1ELi2ELi0ELi3EEEES22_NST_IJLi4ELi1ELi1ELi2EEEES22_NST_IJLi1ELi1ELi1ELi2EEEES20_S21_S22_S22_S23_S22_S24_NST_IJLi0ELi1ELi2ELi3ELi4ELi5EEEELi5ELi4EEEDF16_NS5_IJPKDF16_EEEDF16_S8_S8_S9_NSB_INS5_IJSE_SG_SI_SI_SI_SG_SG_SK_SK_SK_SG_SN_SN_SP_SP_SR_SG_SG_NSQ_INS5_IJiNS_17integral_constantIiLi128EEEEEELb0EEENSF_INS2A_IiLi2EEEEEEEENS5_IJSU_SV_SW_SX_SY_SZ_S10_S11_S12_S13_S14_S15_S16_S17_S18_S19_S1A_NST_IJLi23EEEES1J_NST_IJLi24EEEEEEENS5_IJS1C_S10_S11_S12_S13_S14_S1D_S1E_S1F_S1G_S1H_S17_S18_S1A_S19_S1I_S1J_NST_IJLi26EEEENST_IJLi27ELi28EEEENST_IJLi29EEEEEEENST_IJLi26ELi27ELi28ELi29EEEElEENSB_INS5_IJSR_SP_SP_SR_SG_SG_S2D_S2F_EEENS5_IJSU_SV_SW_SY_SX_SZ_S11_S10_EEENS5_IJS1P_SX_SY_S1Q_S11_S12_NST_IJLi9ELi10EEEES1D_EEENST_IJLi8ELi9ELi10ELi11EEEElEENS5_IJNSB_INS5_IJSK_SP_SP_NSQ_INS5_IJiS2E_NS2A_IiLi64EEEEEELb0EEES2Y_EEENS5_IJSU_SV_SW_SX_SY_EEENS5_IJS1P_SX_SY_NST_IJLi5ELi6ELi7EEEENST_IJLi8ELi9ELi10EEEEEEENST_IJLi5ELi6ELi7ELi8ELi9ELi10EEEElEEEEES35_NS_31BlockToCTileMap_M00_N00_M01_N01ILi128ELi128ES1Y_Lb0EEENS1_30ComputePtrOffsetOfStridedBatchILi1ELi1ELi1EvEELb1ELb0EEEvPKT0_S3D_T1_PT2_T3_T4_T5_iT6_T7_T8_T9_T10_T11_.num_vgpr, 128
	.set _ZN2ck16tensor_operation6device12_GLOBAL__N_137kernel_grouped_conv_fwd_dl_multiple_dINS_32GridwiseGemmDlMultipleD_km_kn_mnILi256EDF16_fNS_5TupleIJDF16_EEEDF16_NS0_12element_wise11PassThroughES8_NS7_7AddReluELNS_25InMemoryDataOperationEnumE0ENS_16TensorDescriptorINS5_IJNS_5EmbedINS5_IJiiiiiEEESD_Lb0EEENS_11PassThroughIiEENS_3PadIiiiLb0EEESI_SI_SG_SG_NSC_INS5_IJiiEEESJ_Lb0EEESK_SK_SG_NS_23Merge_v2_magic_divisionINS5_IJiiiiEEEEESN_NS_8RightPadIiiLb0EEESP_NS_7UnMergeISJ_Lb0EEESG_EEENS5_IJNS_8SequenceIJLi0EEEENST_IJLi1EEEENST_IJLi2EEEENST_IJLi3EEEENST_IJLi4EEEENST_IJLi5EEEENST_IJLi6EEEENST_IJLi7EEEENST_IJLi8EEEENST_IJLi9EEEENST_IJLi10EEEENST_IJLi11ELi13ELi15ELi17EEEENST_IJLi12ELi14ELi16ELi18EEEENST_IJLi19EEEENST_IJLi20EEEENST_IJLi22EEEENST_IJLi21EEEEEEENS5_IJNST_IJLi1ELi2ELi3ELi4ELi5EEEES10_S11_S12_S13_S14_NST_IJLi11EEEENST_IJLi12ELi13EEEENST_IJLi14ELi15EEEENST_IJLi16ELi17EEEENST_IJLi18EEEES17_S18_S1A_S19_NST_IJLi23ELi24EEEENST_IJLi25EEEEEEENST_IJLi23ELi25ELi24EEEElEENSB_INS5_IJSR_SP_SP_SR_SG_EEENS5_IJSU_SV_SW_SY_SX_EEENS5_IJNST_IJLi1ELi2EEEESX_SY_NST_IJLi5ELi6EEEES11_EEENST_IJLi5ELi7ELi6EEEElEENSB_INS5_IJSK_SP_SP_EEENS5_IJSU_SV_SW_EEENS5_IJS1P_SX_SY_EEENST_IJLi3ELi4EEEElEELi128ELi128ELi16ELi2ELi4ELi4ELi1ENST_IJLi8ELi2EEEES1Z_NST_IJLi8ELi1ELi1ELi2EEEENST_IJLi2ELi1ELi128ELi1EEEENST_IJLi1ELi2ELi0ELi3EEEES22_NST_IJLi4ELi1ELi1ELi2EEEES22_NST_IJLi1ELi1ELi1ELi2EEEES20_S21_S22_S22_S23_S22_S24_NST_IJLi0ELi1ELi2ELi3ELi4ELi5EEEELi5ELi4EEEDF16_NS5_IJPKDF16_EEEDF16_S8_S8_S9_NSB_INS5_IJSE_SG_SI_SI_SI_SG_SG_SK_SK_SK_SG_SN_SN_SP_SP_SR_SG_SG_NSQ_INS5_IJiNS_17integral_constantIiLi128EEEEEELb0EEENSF_INS2A_IiLi2EEEEEEEENS5_IJSU_SV_SW_SX_SY_SZ_S10_S11_S12_S13_S14_S15_S16_S17_S18_S19_S1A_NST_IJLi23EEEES1J_NST_IJLi24EEEEEEENS5_IJS1C_S10_S11_S12_S13_S14_S1D_S1E_S1F_S1G_S1H_S17_S18_S1A_S19_S1I_S1J_NST_IJLi26EEEENST_IJLi27ELi28EEEENST_IJLi29EEEEEEENST_IJLi26ELi27ELi28ELi29EEEElEENSB_INS5_IJSR_SP_SP_SR_SG_SG_S2D_S2F_EEENS5_IJSU_SV_SW_SY_SX_SZ_S11_S10_EEENS5_IJS1P_SX_SY_S1Q_S11_S12_NST_IJLi9ELi10EEEES1D_EEENST_IJLi8ELi9ELi10ELi11EEEElEENS5_IJNSB_INS5_IJSK_SP_SP_NSQ_INS5_IJiS2E_NS2A_IiLi64EEEEEELb0EEES2Y_EEENS5_IJSU_SV_SW_SX_SY_EEENS5_IJS1P_SX_SY_NST_IJLi5ELi6ELi7EEEENST_IJLi8ELi9ELi10EEEEEEENST_IJLi5ELi6ELi7ELi8ELi9ELi10EEEElEEEEES35_NS_31BlockToCTileMap_M00_N00_M01_N01ILi128ELi128ES1Y_Lb0EEENS1_30ComputePtrOffsetOfStridedBatchILi1ELi1ELi1EvEELb1ELb0EEEvPKT0_S3D_T1_PT2_T3_T4_T5_iT6_T7_T8_T9_T10_T11_.num_agpr, 0
	.set _ZN2ck16tensor_operation6device12_GLOBAL__N_137kernel_grouped_conv_fwd_dl_multiple_dINS_32GridwiseGemmDlMultipleD_km_kn_mnILi256EDF16_fNS_5TupleIJDF16_EEEDF16_NS0_12element_wise11PassThroughES8_NS7_7AddReluELNS_25InMemoryDataOperationEnumE0ENS_16TensorDescriptorINS5_IJNS_5EmbedINS5_IJiiiiiEEESD_Lb0EEENS_11PassThroughIiEENS_3PadIiiiLb0EEESI_SI_SG_SG_NSC_INS5_IJiiEEESJ_Lb0EEESK_SK_SG_NS_23Merge_v2_magic_divisionINS5_IJiiiiEEEEESN_NS_8RightPadIiiLb0EEESP_NS_7UnMergeISJ_Lb0EEESG_EEENS5_IJNS_8SequenceIJLi0EEEENST_IJLi1EEEENST_IJLi2EEEENST_IJLi3EEEENST_IJLi4EEEENST_IJLi5EEEENST_IJLi6EEEENST_IJLi7EEEENST_IJLi8EEEENST_IJLi9EEEENST_IJLi10EEEENST_IJLi11ELi13ELi15ELi17EEEENST_IJLi12ELi14ELi16ELi18EEEENST_IJLi19EEEENST_IJLi20EEEENST_IJLi22EEEENST_IJLi21EEEEEEENS5_IJNST_IJLi1ELi2ELi3ELi4ELi5EEEES10_S11_S12_S13_S14_NST_IJLi11EEEENST_IJLi12ELi13EEEENST_IJLi14ELi15EEEENST_IJLi16ELi17EEEENST_IJLi18EEEES17_S18_S1A_S19_NST_IJLi23ELi24EEEENST_IJLi25EEEEEEENST_IJLi23ELi25ELi24EEEElEENSB_INS5_IJSR_SP_SP_SR_SG_EEENS5_IJSU_SV_SW_SY_SX_EEENS5_IJNST_IJLi1ELi2EEEESX_SY_NST_IJLi5ELi6EEEES11_EEENST_IJLi5ELi7ELi6EEEElEENSB_INS5_IJSK_SP_SP_EEENS5_IJSU_SV_SW_EEENS5_IJS1P_SX_SY_EEENST_IJLi3ELi4EEEElEELi128ELi128ELi16ELi2ELi4ELi4ELi1ENST_IJLi8ELi2EEEES1Z_NST_IJLi8ELi1ELi1ELi2EEEENST_IJLi2ELi1ELi128ELi1EEEENST_IJLi1ELi2ELi0ELi3EEEES22_NST_IJLi4ELi1ELi1ELi2EEEES22_NST_IJLi1ELi1ELi1ELi2EEEES20_S21_S22_S22_S23_S22_S24_NST_IJLi0ELi1ELi2ELi3ELi4ELi5EEEELi5ELi4EEEDF16_NS5_IJPKDF16_EEEDF16_S8_S8_S9_NSB_INS5_IJSE_SG_SI_SI_SI_SG_SG_SK_SK_SK_SG_SN_SN_SP_SP_SR_SG_SG_NSQ_INS5_IJiNS_17integral_constantIiLi128EEEEEELb0EEENSF_INS2A_IiLi2EEEEEEEENS5_IJSU_SV_SW_SX_SY_SZ_S10_S11_S12_S13_S14_S15_S16_S17_S18_S19_S1A_NST_IJLi23EEEES1J_NST_IJLi24EEEEEEENS5_IJS1C_S10_S11_S12_S13_S14_S1D_S1E_S1F_S1G_S1H_S17_S18_S1A_S19_S1I_S1J_NST_IJLi26EEEENST_IJLi27ELi28EEEENST_IJLi29EEEEEEENST_IJLi26ELi27ELi28ELi29EEEElEENSB_INS5_IJSR_SP_SP_SR_SG_SG_S2D_S2F_EEENS5_IJSU_SV_SW_SY_SX_SZ_S11_S10_EEENS5_IJS1P_SX_SY_S1Q_S11_S12_NST_IJLi9ELi10EEEES1D_EEENST_IJLi8ELi9ELi10ELi11EEEElEENS5_IJNSB_INS5_IJSK_SP_SP_NSQ_INS5_IJiS2E_NS2A_IiLi64EEEEEELb0EEES2Y_EEENS5_IJSU_SV_SW_SX_SY_EEENS5_IJS1P_SX_SY_NST_IJLi5ELi6ELi7EEEENST_IJLi8ELi9ELi10EEEEEEENST_IJLi5ELi6ELi7ELi8ELi9ELi10EEEElEEEEES35_NS_31BlockToCTileMap_M00_N00_M01_N01ILi128ELi128ES1Y_Lb0EEENS1_30ComputePtrOffsetOfStridedBatchILi1ELi1ELi1EvEELb1ELb0EEEvPKT0_S3D_T1_PT2_T3_T4_T5_iT6_T7_T8_T9_T10_T11_.numbered_sgpr, 88
	.set _ZN2ck16tensor_operation6device12_GLOBAL__N_137kernel_grouped_conv_fwd_dl_multiple_dINS_32GridwiseGemmDlMultipleD_km_kn_mnILi256EDF16_fNS_5TupleIJDF16_EEEDF16_NS0_12element_wise11PassThroughES8_NS7_7AddReluELNS_25InMemoryDataOperationEnumE0ENS_16TensorDescriptorINS5_IJNS_5EmbedINS5_IJiiiiiEEESD_Lb0EEENS_11PassThroughIiEENS_3PadIiiiLb0EEESI_SI_SG_SG_NSC_INS5_IJiiEEESJ_Lb0EEESK_SK_SG_NS_23Merge_v2_magic_divisionINS5_IJiiiiEEEEESN_NS_8RightPadIiiLb0EEESP_NS_7UnMergeISJ_Lb0EEESG_EEENS5_IJNS_8SequenceIJLi0EEEENST_IJLi1EEEENST_IJLi2EEEENST_IJLi3EEEENST_IJLi4EEEENST_IJLi5EEEENST_IJLi6EEEENST_IJLi7EEEENST_IJLi8EEEENST_IJLi9EEEENST_IJLi10EEEENST_IJLi11ELi13ELi15ELi17EEEENST_IJLi12ELi14ELi16ELi18EEEENST_IJLi19EEEENST_IJLi20EEEENST_IJLi22EEEENST_IJLi21EEEEEEENS5_IJNST_IJLi1ELi2ELi3ELi4ELi5EEEES10_S11_S12_S13_S14_NST_IJLi11EEEENST_IJLi12ELi13EEEENST_IJLi14ELi15EEEENST_IJLi16ELi17EEEENST_IJLi18EEEES17_S18_S1A_S19_NST_IJLi23ELi24EEEENST_IJLi25EEEEEEENST_IJLi23ELi25ELi24EEEElEENSB_INS5_IJSR_SP_SP_SR_SG_EEENS5_IJSU_SV_SW_SY_SX_EEENS5_IJNST_IJLi1ELi2EEEESX_SY_NST_IJLi5ELi6EEEES11_EEENST_IJLi5ELi7ELi6EEEElEENSB_INS5_IJSK_SP_SP_EEENS5_IJSU_SV_SW_EEENS5_IJS1P_SX_SY_EEENST_IJLi3ELi4EEEElEELi128ELi128ELi16ELi2ELi4ELi4ELi1ENST_IJLi8ELi2EEEES1Z_NST_IJLi8ELi1ELi1ELi2EEEENST_IJLi2ELi1ELi128ELi1EEEENST_IJLi1ELi2ELi0ELi3EEEES22_NST_IJLi4ELi1ELi1ELi2EEEES22_NST_IJLi1ELi1ELi1ELi2EEEES20_S21_S22_S22_S23_S22_S24_NST_IJLi0ELi1ELi2ELi3ELi4ELi5EEEELi5ELi4EEEDF16_NS5_IJPKDF16_EEEDF16_S8_S8_S9_NSB_INS5_IJSE_SG_SI_SI_SI_SG_SG_SK_SK_SK_SG_SN_SN_SP_SP_SR_SG_SG_NSQ_INS5_IJiNS_17integral_constantIiLi128EEEEEELb0EEENSF_INS2A_IiLi2EEEEEEEENS5_IJSU_SV_SW_SX_SY_SZ_S10_S11_S12_S13_S14_S15_S16_S17_S18_S19_S1A_NST_IJLi23EEEES1J_NST_IJLi24EEEEEEENS5_IJS1C_S10_S11_S12_S13_S14_S1D_S1E_S1F_S1G_S1H_S17_S18_S1A_S19_S1I_S1J_NST_IJLi26EEEENST_IJLi27ELi28EEEENST_IJLi29EEEEEEENST_IJLi26ELi27ELi28ELi29EEEElEENSB_INS5_IJSR_SP_SP_SR_SG_SG_S2D_S2F_EEENS5_IJSU_SV_SW_SY_SX_SZ_S11_S10_EEENS5_IJS1P_SX_SY_S1Q_S11_S12_NST_IJLi9ELi10EEEES1D_EEENST_IJLi8ELi9ELi10ELi11EEEElEENS5_IJNSB_INS5_IJSK_SP_SP_NSQ_INS5_IJiS2E_NS2A_IiLi64EEEEEELb0EEES2Y_EEENS5_IJSU_SV_SW_SX_SY_EEENS5_IJS1P_SX_SY_NST_IJLi5ELi6ELi7EEEENST_IJLi8ELi9ELi10EEEEEEENST_IJLi5ELi6ELi7ELi8ELi9ELi10EEEElEEEEES35_NS_31BlockToCTileMap_M00_N00_M01_N01ILi128ELi128ES1Y_Lb0EEENS1_30ComputePtrOffsetOfStridedBatchILi1ELi1ELi1EvEELb1ELb0EEEvPKT0_S3D_T1_PT2_T3_T4_T5_iT6_T7_T8_T9_T10_T11_.num_named_barrier, 0
	.set _ZN2ck16tensor_operation6device12_GLOBAL__N_137kernel_grouped_conv_fwd_dl_multiple_dINS_32GridwiseGemmDlMultipleD_km_kn_mnILi256EDF16_fNS_5TupleIJDF16_EEEDF16_NS0_12element_wise11PassThroughES8_NS7_7AddReluELNS_25InMemoryDataOperationEnumE0ENS_16TensorDescriptorINS5_IJNS_5EmbedINS5_IJiiiiiEEESD_Lb0EEENS_11PassThroughIiEENS_3PadIiiiLb0EEESI_SI_SG_SG_NSC_INS5_IJiiEEESJ_Lb0EEESK_SK_SG_NS_23Merge_v2_magic_divisionINS5_IJiiiiEEEEESN_NS_8RightPadIiiLb0EEESP_NS_7UnMergeISJ_Lb0EEESG_EEENS5_IJNS_8SequenceIJLi0EEEENST_IJLi1EEEENST_IJLi2EEEENST_IJLi3EEEENST_IJLi4EEEENST_IJLi5EEEENST_IJLi6EEEENST_IJLi7EEEENST_IJLi8EEEENST_IJLi9EEEENST_IJLi10EEEENST_IJLi11ELi13ELi15ELi17EEEENST_IJLi12ELi14ELi16ELi18EEEENST_IJLi19EEEENST_IJLi20EEEENST_IJLi22EEEENST_IJLi21EEEEEEENS5_IJNST_IJLi1ELi2ELi3ELi4ELi5EEEES10_S11_S12_S13_S14_NST_IJLi11EEEENST_IJLi12ELi13EEEENST_IJLi14ELi15EEEENST_IJLi16ELi17EEEENST_IJLi18EEEES17_S18_S1A_S19_NST_IJLi23ELi24EEEENST_IJLi25EEEEEEENST_IJLi23ELi25ELi24EEEElEENSB_INS5_IJSR_SP_SP_SR_SG_EEENS5_IJSU_SV_SW_SY_SX_EEENS5_IJNST_IJLi1ELi2EEEESX_SY_NST_IJLi5ELi6EEEES11_EEENST_IJLi5ELi7ELi6EEEElEENSB_INS5_IJSK_SP_SP_EEENS5_IJSU_SV_SW_EEENS5_IJS1P_SX_SY_EEENST_IJLi3ELi4EEEElEELi128ELi128ELi16ELi2ELi4ELi4ELi1ENST_IJLi8ELi2EEEES1Z_NST_IJLi8ELi1ELi1ELi2EEEENST_IJLi2ELi1ELi128ELi1EEEENST_IJLi1ELi2ELi0ELi3EEEES22_NST_IJLi4ELi1ELi1ELi2EEEES22_NST_IJLi1ELi1ELi1ELi2EEEES20_S21_S22_S22_S23_S22_S24_NST_IJLi0ELi1ELi2ELi3ELi4ELi5EEEELi5ELi4EEEDF16_NS5_IJPKDF16_EEEDF16_S8_S8_S9_NSB_INS5_IJSE_SG_SI_SI_SI_SG_SG_SK_SK_SK_SG_SN_SN_SP_SP_SR_SG_SG_NSQ_INS5_IJiNS_17integral_constantIiLi128EEEEEELb0EEENSF_INS2A_IiLi2EEEEEEEENS5_IJSU_SV_SW_SX_SY_SZ_S10_S11_S12_S13_S14_S15_S16_S17_S18_S19_S1A_NST_IJLi23EEEES1J_NST_IJLi24EEEEEEENS5_IJS1C_S10_S11_S12_S13_S14_S1D_S1E_S1F_S1G_S1H_S17_S18_S1A_S19_S1I_S1J_NST_IJLi26EEEENST_IJLi27ELi28EEEENST_IJLi29EEEEEEENST_IJLi26ELi27ELi28ELi29EEEElEENSB_INS5_IJSR_SP_SP_SR_SG_SG_S2D_S2F_EEENS5_IJSU_SV_SW_SY_SX_SZ_S11_S10_EEENS5_IJS1P_SX_SY_S1Q_S11_S12_NST_IJLi9ELi10EEEES1D_EEENST_IJLi8ELi9ELi10ELi11EEEElEENS5_IJNSB_INS5_IJSK_SP_SP_NSQ_INS5_IJiS2E_NS2A_IiLi64EEEEEELb0EEES2Y_EEENS5_IJSU_SV_SW_SX_SY_EEENS5_IJS1P_SX_SY_NST_IJLi5ELi6ELi7EEEENST_IJLi8ELi9ELi10EEEEEEENST_IJLi5ELi6ELi7ELi8ELi9ELi10EEEElEEEEES35_NS_31BlockToCTileMap_M00_N00_M01_N01ILi128ELi128ES1Y_Lb0EEENS1_30ComputePtrOffsetOfStridedBatchILi1ELi1ELi1EvEELb1ELb0EEEvPKT0_S3D_T1_PT2_T3_T4_T5_iT6_T7_T8_T9_T10_T11_.private_seg_size, 136
	.set _ZN2ck16tensor_operation6device12_GLOBAL__N_137kernel_grouped_conv_fwd_dl_multiple_dINS_32GridwiseGemmDlMultipleD_km_kn_mnILi256EDF16_fNS_5TupleIJDF16_EEEDF16_NS0_12element_wise11PassThroughES8_NS7_7AddReluELNS_25InMemoryDataOperationEnumE0ENS_16TensorDescriptorINS5_IJNS_5EmbedINS5_IJiiiiiEEESD_Lb0EEENS_11PassThroughIiEENS_3PadIiiiLb0EEESI_SI_SG_SG_NSC_INS5_IJiiEEESJ_Lb0EEESK_SK_SG_NS_23Merge_v2_magic_divisionINS5_IJiiiiEEEEESN_NS_8RightPadIiiLb0EEESP_NS_7UnMergeISJ_Lb0EEESG_EEENS5_IJNS_8SequenceIJLi0EEEENST_IJLi1EEEENST_IJLi2EEEENST_IJLi3EEEENST_IJLi4EEEENST_IJLi5EEEENST_IJLi6EEEENST_IJLi7EEEENST_IJLi8EEEENST_IJLi9EEEENST_IJLi10EEEENST_IJLi11ELi13ELi15ELi17EEEENST_IJLi12ELi14ELi16ELi18EEEENST_IJLi19EEEENST_IJLi20EEEENST_IJLi22EEEENST_IJLi21EEEEEEENS5_IJNST_IJLi1ELi2ELi3ELi4ELi5EEEES10_S11_S12_S13_S14_NST_IJLi11EEEENST_IJLi12ELi13EEEENST_IJLi14ELi15EEEENST_IJLi16ELi17EEEENST_IJLi18EEEES17_S18_S1A_S19_NST_IJLi23ELi24EEEENST_IJLi25EEEEEEENST_IJLi23ELi25ELi24EEEElEENSB_INS5_IJSR_SP_SP_SR_SG_EEENS5_IJSU_SV_SW_SY_SX_EEENS5_IJNST_IJLi1ELi2EEEESX_SY_NST_IJLi5ELi6EEEES11_EEENST_IJLi5ELi7ELi6EEEElEENSB_INS5_IJSK_SP_SP_EEENS5_IJSU_SV_SW_EEENS5_IJS1P_SX_SY_EEENST_IJLi3ELi4EEEElEELi128ELi128ELi16ELi2ELi4ELi4ELi1ENST_IJLi8ELi2EEEES1Z_NST_IJLi8ELi1ELi1ELi2EEEENST_IJLi2ELi1ELi128ELi1EEEENST_IJLi1ELi2ELi0ELi3EEEES22_NST_IJLi4ELi1ELi1ELi2EEEES22_NST_IJLi1ELi1ELi1ELi2EEEES20_S21_S22_S22_S23_S22_S24_NST_IJLi0ELi1ELi2ELi3ELi4ELi5EEEELi5ELi4EEEDF16_NS5_IJPKDF16_EEEDF16_S8_S8_S9_NSB_INS5_IJSE_SG_SI_SI_SI_SG_SG_SK_SK_SK_SG_SN_SN_SP_SP_SR_SG_SG_NSQ_INS5_IJiNS_17integral_constantIiLi128EEEEEELb0EEENSF_INS2A_IiLi2EEEEEEEENS5_IJSU_SV_SW_SX_SY_SZ_S10_S11_S12_S13_S14_S15_S16_S17_S18_S19_S1A_NST_IJLi23EEEES1J_NST_IJLi24EEEEEEENS5_IJS1C_S10_S11_S12_S13_S14_S1D_S1E_S1F_S1G_S1H_S17_S18_S1A_S19_S1I_S1J_NST_IJLi26EEEENST_IJLi27ELi28EEEENST_IJLi29EEEEEEENST_IJLi26ELi27ELi28ELi29EEEElEENSB_INS5_IJSR_SP_SP_SR_SG_SG_S2D_S2F_EEENS5_IJSU_SV_SW_SY_SX_SZ_S11_S10_EEENS5_IJS1P_SX_SY_S1Q_S11_S12_NST_IJLi9ELi10EEEES1D_EEENST_IJLi8ELi9ELi10ELi11EEEElEENS5_IJNSB_INS5_IJSK_SP_SP_NSQ_INS5_IJiS2E_NS2A_IiLi64EEEEEELb0EEES2Y_EEENS5_IJSU_SV_SW_SX_SY_EEENS5_IJS1P_SX_SY_NST_IJLi5ELi6ELi7EEEENST_IJLi8ELi9ELi10EEEEEEENST_IJLi5ELi6ELi7ELi8ELi9ELi10EEEElEEEEES35_NS_31BlockToCTileMap_M00_N00_M01_N01ILi128ELi128ES1Y_Lb0EEENS1_30ComputePtrOffsetOfStridedBatchILi1ELi1ELi1EvEELb1ELb0EEEvPKT0_S3D_T1_PT2_T3_T4_T5_iT6_T7_T8_T9_T10_T11_.uses_vcc, 1
	.set _ZN2ck16tensor_operation6device12_GLOBAL__N_137kernel_grouped_conv_fwd_dl_multiple_dINS_32GridwiseGemmDlMultipleD_km_kn_mnILi256EDF16_fNS_5TupleIJDF16_EEEDF16_NS0_12element_wise11PassThroughES8_NS7_7AddReluELNS_25InMemoryDataOperationEnumE0ENS_16TensorDescriptorINS5_IJNS_5EmbedINS5_IJiiiiiEEESD_Lb0EEENS_11PassThroughIiEENS_3PadIiiiLb0EEESI_SI_SG_SG_NSC_INS5_IJiiEEESJ_Lb0EEESK_SK_SG_NS_23Merge_v2_magic_divisionINS5_IJiiiiEEEEESN_NS_8RightPadIiiLb0EEESP_NS_7UnMergeISJ_Lb0EEESG_EEENS5_IJNS_8SequenceIJLi0EEEENST_IJLi1EEEENST_IJLi2EEEENST_IJLi3EEEENST_IJLi4EEEENST_IJLi5EEEENST_IJLi6EEEENST_IJLi7EEEENST_IJLi8EEEENST_IJLi9EEEENST_IJLi10EEEENST_IJLi11ELi13ELi15ELi17EEEENST_IJLi12ELi14ELi16ELi18EEEENST_IJLi19EEEENST_IJLi20EEEENST_IJLi22EEEENST_IJLi21EEEEEEENS5_IJNST_IJLi1ELi2ELi3ELi4ELi5EEEES10_S11_S12_S13_S14_NST_IJLi11EEEENST_IJLi12ELi13EEEENST_IJLi14ELi15EEEENST_IJLi16ELi17EEEENST_IJLi18EEEES17_S18_S1A_S19_NST_IJLi23ELi24EEEENST_IJLi25EEEEEEENST_IJLi23ELi25ELi24EEEElEENSB_INS5_IJSR_SP_SP_SR_SG_EEENS5_IJSU_SV_SW_SY_SX_EEENS5_IJNST_IJLi1ELi2EEEESX_SY_NST_IJLi5ELi6EEEES11_EEENST_IJLi5ELi7ELi6EEEElEENSB_INS5_IJSK_SP_SP_EEENS5_IJSU_SV_SW_EEENS5_IJS1P_SX_SY_EEENST_IJLi3ELi4EEEElEELi128ELi128ELi16ELi2ELi4ELi4ELi1ENST_IJLi8ELi2EEEES1Z_NST_IJLi8ELi1ELi1ELi2EEEENST_IJLi2ELi1ELi128ELi1EEEENST_IJLi1ELi2ELi0ELi3EEEES22_NST_IJLi4ELi1ELi1ELi2EEEES22_NST_IJLi1ELi1ELi1ELi2EEEES20_S21_S22_S22_S23_S22_S24_NST_IJLi0ELi1ELi2ELi3ELi4ELi5EEEELi5ELi4EEEDF16_NS5_IJPKDF16_EEEDF16_S8_S8_S9_NSB_INS5_IJSE_SG_SI_SI_SI_SG_SG_SK_SK_SK_SG_SN_SN_SP_SP_SR_SG_SG_NSQ_INS5_IJiNS_17integral_constantIiLi128EEEEEELb0EEENSF_INS2A_IiLi2EEEEEEEENS5_IJSU_SV_SW_SX_SY_SZ_S10_S11_S12_S13_S14_S15_S16_S17_S18_S19_S1A_NST_IJLi23EEEES1J_NST_IJLi24EEEEEEENS5_IJS1C_S10_S11_S12_S13_S14_S1D_S1E_S1F_S1G_S1H_S17_S18_S1A_S19_S1I_S1J_NST_IJLi26EEEENST_IJLi27ELi28EEEENST_IJLi29EEEEEEENST_IJLi26ELi27ELi28ELi29EEEElEENSB_INS5_IJSR_SP_SP_SR_SG_SG_S2D_S2F_EEENS5_IJSU_SV_SW_SY_SX_SZ_S11_S10_EEENS5_IJS1P_SX_SY_S1Q_S11_S12_NST_IJLi9ELi10EEEES1D_EEENST_IJLi8ELi9ELi10ELi11EEEElEENS5_IJNSB_INS5_IJSK_SP_SP_NSQ_INS5_IJiS2E_NS2A_IiLi64EEEEEELb0EEES2Y_EEENS5_IJSU_SV_SW_SX_SY_EEENS5_IJS1P_SX_SY_NST_IJLi5ELi6ELi7EEEENST_IJLi8ELi9ELi10EEEEEEENST_IJLi5ELi6ELi7ELi8ELi9ELi10EEEElEEEEES35_NS_31BlockToCTileMap_M00_N00_M01_N01ILi128ELi128ES1Y_Lb0EEENS1_30ComputePtrOffsetOfStridedBatchILi1ELi1ELi1EvEELb1ELb0EEEvPKT0_S3D_T1_PT2_T3_T4_T5_iT6_T7_T8_T9_T10_T11_.uses_flat_scratch, 0
	.set _ZN2ck16tensor_operation6device12_GLOBAL__N_137kernel_grouped_conv_fwd_dl_multiple_dINS_32GridwiseGemmDlMultipleD_km_kn_mnILi256EDF16_fNS_5TupleIJDF16_EEEDF16_NS0_12element_wise11PassThroughES8_NS7_7AddReluELNS_25InMemoryDataOperationEnumE0ENS_16TensorDescriptorINS5_IJNS_5EmbedINS5_IJiiiiiEEESD_Lb0EEENS_11PassThroughIiEENS_3PadIiiiLb0EEESI_SI_SG_SG_NSC_INS5_IJiiEEESJ_Lb0EEESK_SK_SG_NS_23Merge_v2_magic_divisionINS5_IJiiiiEEEEESN_NS_8RightPadIiiLb0EEESP_NS_7UnMergeISJ_Lb0EEESG_EEENS5_IJNS_8SequenceIJLi0EEEENST_IJLi1EEEENST_IJLi2EEEENST_IJLi3EEEENST_IJLi4EEEENST_IJLi5EEEENST_IJLi6EEEENST_IJLi7EEEENST_IJLi8EEEENST_IJLi9EEEENST_IJLi10EEEENST_IJLi11ELi13ELi15ELi17EEEENST_IJLi12ELi14ELi16ELi18EEEENST_IJLi19EEEENST_IJLi20EEEENST_IJLi22EEEENST_IJLi21EEEEEEENS5_IJNST_IJLi1ELi2ELi3ELi4ELi5EEEES10_S11_S12_S13_S14_NST_IJLi11EEEENST_IJLi12ELi13EEEENST_IJLi14ELi15EEEENST_IJLi16ELi17EEEENST_IJLi18EEEES17_S18_S1A_S19_NST_IJLi23ELi24EEEENST_IJLi25EEEEEEENST_IJLi23ELi25ELi24EEEElEENSB_INS5_IJSR_SP_SP_SR_SG_EEENS5_IJSU_SV_SW_SY_SX_EEENS5_IJNST_IJLi1ELi2EEEESX_SY_NST_IJLi5ELi6EEEES11_EEENST_IJLi5ELi7ELi6EEEElEENSB_INS5_IJSK_SP_SP_EEENS5_IJSU_SV_SW_EEENS5_IJS1P_SX_SY_EEENST_IJLi3ELi4EEEElEELi128ELi128ELi16ELi2ELi4ELi4ELi1ENST_IJLi8ELi2EEEES1Z_NST_IJLi8ELi1ELi1ELi2EEEENST_IJLi2ELi1ELi128ELi1EEEENST_IJLi1ELi2ELi0ELi3EEEES22_NST_IJLi4ELi1ELi1ELi2EEEES22_NST_IJLi1ELi1ELi1ELi2EEEES20_S21_S22_S22_S23_S22_S24_NST_IJLi0ELi1ELi2ELi3ELi4ELi5EEEELi5ELi4EEEDF16_NS5_IJPKDF16_EEEDF16_S8_S8_S9_NSB_INS5_IJSE_SG_SI_SI_SI_SG_SG_SK_SK_SK_SG_SN_SN_SP_SP_SR_SG_SG_NSQ_INS5_IJiNS_17integral_constantIiLi128EEEEEELb0EEENSF_INS2A_IiLi2EEEEEEEENS5_IJSU_SV_SW_SX_SY_SZ_S10_S11_S12_S13_S14_S15_S16_S17_S18_S19_S1A_NST_IJLi23EEEES1J_NST_IJLi24EEEEEEENS5_IJS1C_S10_S11_S12_S13_S14_S1D_S1E_S1F_S1G_S1H_S17_S18_S1A_S19_S1I_S1J_NST_IJLi26EEEENST_IJLi27ELi28EEEENST_IJLi29EEEEEEENST_IJLi26ELi27ELi28ELi29EEEElEENSB_INS5_IJSR_SP_SP_SR_SG_SG_S2D_S2F_EEENS5_IJSU_SV_SW_SY_SX_SZ_S11_S10_EEENS5_IJS1P_SX_SY_S1Q_S11_S12_NST_IJLi9ELi10EEEES1D_EEENST_IJLi8ELi9ELi10ELi11EEEElEENS5_IJNSB_INS5_IJSK_SP_SP_NSQ_INS5_IJiS2E_NS2A_IiLi64EEEEEELb0EEES2Y_EEENS5_IJSU_SV_SW_SX_SY_EEENS5_IJS1P_SX_SY_NST_IJLi5ELi6ELi7EEEENST_IJLi8ELi9ELi10EEEEEEENST_IJLi5ELi6ELi7ELi8ELi9ELi10EEEElEEEEES35_NS_31BlockToCTileMap_M00_N00_M01_N01ILi128ELi128ES1Y_Lb0EEENS1_30ComputePtrOffsetOfStridedBatchILi1ELi1ELi1EvEELb1ELb0EEEvPKT0_S3D_T1_PT2_T3_T4_T5_iT6_T7_T8_T9_T10_T11_.has_dyn_sized_stack, 0
	.set _ZN2ck16tensor_operation6device12_GLOBAL__N_137kernel_grouped_conv_fwd_dl_multiple_dINS_32GridwiseGemmDlMultipleD_km_kn_mnILi256EDF16_fNS_5TupleIJDF16_EEEDF16_NS0_12element_wise11PassThroughES8_NS7_7AddReluELNS_25InMemoryDataOperationEnumE0ENS_16TensorDescriptorINS5_IJNS_5EmbedINS5_IJiiiiiEEESD_Lb0EEENS_11PassThroughIiEENS_3PadIiiiLb0EEESI_SI_SG_SG_NSC_INS5_IJiiEEESJ_Lb0EEESK_SK_SG_NS_23Merge_v2_magic_divisionINS5_IJiiiiEEEEESN_NS_8RightPadIiiLb0EEESP_NS_7UnMergeISJ_Lb0EEESG_EEENS5_IJNS_8SequenceIJLi0EEEENST_IJLi1EEEENST_IJLi2EEEENST_IJLi3EEEENST_IJLi4EEEENST_IJLi5EEEENST_IJLi6EEEENST_IJLi7EEEENST_IJLi8EEEENST_IJLi9EEEENST_IJLi10EEEENST_IJLi11ELi13ELi15ELi17EEEENST_IJLi12ELi14ELi16ELi18EEEENST_IJLi19EEEENST_IJLi20EEEENST_IJLi22EEEENST_IJLi21EEEEEEENS5_IJNST_IJLi1ELi2ELi3ELi4ELi5EEEES10_S11_S12_S13_S14_NST_IJLi11EEEENST_IJLi12ELi13EEEENST_IJLi14ELi15EEEENST_IJLi16ELi17EEEENST_IJLi18EEEES17_S18_S1A_S19_NST_IJLi23ELi24EEEENST_IJLi25EEEEEEENST_IJLi23ELi25ELi24EEEElEENSB_INS5_IJSR_SP_SP_SR_SG_EEENS5_IJSU_SV_SW_SY_SX_EEENS5_IJNST_IJLi1ELi2EEEESX_SY_NST_IJLi5ELi6EEEES11_EEENST_IJLi5ELi7ELi6EEEElEENSB_INS5_IJSK_SP_SP_EEENS5_IJSU_SV_SW_EEENS5_IJS1P_SX_SY_EEENST_IJLi3ELi4EEEElEELi128ELi128ELi16ELi2ELi4ELi4ELi1ENST_IJLi8ELi2EEEES1Z_NST_IJLi8ELi1ELi1ELi2EEEENST_IJLi2ELi1ELi128ELi1EEEENST_IJLi1ELi2ELi0ELi3EEEES22_NST_IJLi4ELi1ELi1ELi2EEEES22_NST_IJLi1ELi1ELi1ELi2EEEES20_S21_S22_S22_S23_S22_S24_NST_IJLi0ELi1ELi2ELi3ELi4ELi5EEEELi5ELi4EEEDF16_NS5_IJPKDF16_EEEDF16_S8_S8_S9_NSB_INS5_IJSE_SG_SI_SI_SI_SG_SG_SK_SK_SK_SG_SN_SN_SP_SP_SR_SG_SG_NSQ_INS5_IJiNS_17integral_constantIiLi128EEEEEELb0EEENSF_INS2A_IiLi2EEEEEEEENS5_IJSU_SV_SW_SX_SY_SZ_S10_S11_S12_S13_S14_S15_S16_S17_S18_S19_S1A_NST_IJLi23EEEES1J_NST_IJLi24EEEEEEENS5_IJS1C_S10_S11_S12_S13_S14_S1D_S1E_S1F_S1G_S1H_S17_S18_S1A_S19_S1I_S1J_NST_IJLi26EEEENST_IJLi27ELi28EEEENST_IJLi29EEEEEEENST_IJLi26ELi27ELi28ELi29EEEElEENSB_INS5_IJSR_SP_SP_SR_SG_SG_S2D_S2F_EEENS5_IJSU_SV_SW_SY_SX_SZ_S11_S10_EEENS5_IJS1P_SX_SY_S1Q_S11_S12_NST_IJLi9ELi10EEEES1D_EEENST_IJLi8ELi9ELi10ELi11EEEElEENS5_IJNSB_INS5_IJSK_SP_SP_NSQ_INS5_IJiS2E_NS2A_IiLi64EEEEEELb0EEES2Y_EEENS5_IJSU_SV_SW_SX_SY_EEENS5_IJS1P_SX_SY_NST_IJLi5ELi6ELi7EEEENST_IJLi8ELi9ELi10EEEEEEENST_IJLi5ELi6ELi7ELi8ELi9ELi10EEEElEEEEES35_NS_31BlockToCTileMap_M00_N00_M01_N01ILi128ELi128ES1Y_Lb0EEENS1_30ComputePtrOffsetOfStridedBatchILi1ELi1ELi1EvEELb1ELb0EEEvPKT0_S3D_T1_PT2_T3_T4_T5_iT6_T7_T8_T9_T10_T11_.has_recursion, 0
	.set _ZN2ck16tensor_operation6device12_GLOBAL__N_137kernel_grouped_conv_fwd_dl_multiple_dINS_32GridwiseGemmDlMultipleD_km_kn_mnILi256EDF16_fNS_5TupleIJDF16_EEEDF16_NS0_12element_wise11PassThroughES8_NS7_7AddReluELNS_25InMemoryDataOperationEnumE0ENS_16TensorDescriptorINS5_IJNS_5EmbedINS5_IJiiiiiEEESD_Lb0EEENS_11PassThroughIiEENS_3PadIiiiLb0EEESI_SI_SG_SG_NSC_INS5_IJiiEEESJ_Lb0EEESK_SK_SG_NS_23Merge_v2_magic_divisionINS5_IJiiiiEEEEESN_NS_8RightPadIiiLb0EEESP_NS_7UnMergeISJ_Lb0EEESG_EEENS5_IJNS_8SequenceIJLi0EEEENST_IJLi1EEEENST_IJLi2EEEENST_IJLi3EEEENST_IJLi4EEEENST_IJLi5EEEENST_IJLi6EEEENST_IJLi7EEEENST_IJLi8EEEENST_IJLi9EEEENST_IJLi10EEEENST_IJLi11ELi13ELi15ELi17EEEENST_IJLi12ELi14ELi16ELi18EEEENST_IJLi19EEEENST_IJLi20EEEENST_IJLi22EEEENST_IJLi21EEEEEEENS5_IJNST_IJLi1ELi2ELi3ELi4ELi5EEEES10_S11_S12_S13_S14_NST_IJLi11EEEENST_IJLi12ELi13EEEENST_IJLi14ELi15EEEENST_IJLi16ELi17EEEENST_IJLi18EEEES17_S18_S1A_S19_NST_IJLi23ELi24EEEENST_IJLi25EEEEEEENST_IJLi23ELi25ELi24EEEElEENSB_INS5_IJSR_SP_SP_SR_SG_EEENS5_IJSU_SV_SW_SY_SX_EEENS5_IJNST_IJLi1ELi2EEEESX_SY_NST_IJLi5ELi6EEEES11_EEENST_IJLi5ELi7ELi6EEEElEENSB_INS5_IJSK_SP_SP_EEENS5_IJSU_SV_SW_EEENS5_IJS1P_SX_SY_EEENST_IJLi3ELi4EEEElEELi128ELi128ELi16ELi2ELi4ELi4ELi1ENST_IJLi8ELi2EEEES1Z_NST_IJLi8ELi1ELi1ELi2EEEENST_IJLi2ELi1ELi128ELi1EEEENST_IJLi1ELi2ELi0ELi3EEEES22_NST_IJLi4ELi1ELi1ELi2EEEES22_NST_IJLi1ELi1ELi1ELi2EEEES20_S21_S22_S22_S23_S22_S24_NST_IJLi0ELi1ELi2ELi3ELi4ELi5EEEELi5ELi4EEEDF16_NS5_IJPKDF16_EEEDF16_S8_S8_S9_NSB_INS5_IJSE_SG_SI_SI_SI_SG_SG_SK_SK_SK_SG_SN_SN_SP_SP_SR_SG_SG_NSQ_INS5_IJiNS_17integral_constantIiLi128EEEEEELb0EEENSF_INS2A_IiLi2EEEEEEEENS5_IJSU_SV_SW_SX_SY_SZ_S10_S11_S12_S13_S14_S15_S16_S17_S18_S19_S1A_NST_IJLi23EEEES1J_NST_IJLi24EEEEEEENS5_IJS1C_S10_S11_S12_S13_S14_S1D_S1E_S1F_S1G_S1H_S17_S18_S1A_S19_S1I_S1J_NST_IJLi26EEEENST_IJLi27ELi28EEEENST_IJLi29EEEEEEENST_IJLi26ELi27ELi28ELi29EEEElEENSB_INS5_IJSR_SP_SP_SR_SG_SG_S2D_S2F_EEENS5_IJSU_SV_SW_SY_SX_SZ_S11_S10_EEENS5_IJS1P_SX_SY_S1Q_S11_S12_NST_IJLi9ELi10EEEES1D_EEENST_IJLi8ELi9ELi10ELi11EEEElEENS5_IJNSB_INS5_IJSK_SP_SP_NSQ_INS5_IJiS2E_NS2A_IiLi64EEEEEELb0EEES2Y_EEENS5_IJSU_SV_SW_SX_SY_EEENS5_IJS1P_SX_SY_NST_IJLi5ELi6ELi7EEEENST_IJLi8ELi9ELi10EEEEEEENST_IJLi5ELi6ELi7ELi8ELi9ELi10EEEElEEEEES35_NS_31BlockToCTileMap_M00_N00_M01_N01ILi128ELi128ES1Y_Lb0EEENS1_30ComputePtrOffsetOfStridedBatchILi1ELi1ELi1EvEELb1ELb0EEEvPKT0_S3D_T1_PT2_T3_T4_T5_iT6_T7_T8_T9_T10_T11_.has_indirect_call, 0
	.section	.AMDGPU.csdata,"",@progbits
; Kernel info:
; codeLenInByte = 34388
; TotalNumSgprs: 92
; NumVgprs: 128
; ScratchSize: 136
; MemoryBound: 0
; FloatMode: 240
; IeeeMode: 1
; LDSByteSize: 32768 bytes/workgroup (compile time only)
; SGPRBlocks: 12
; VGPRBlocks: 31
; NumSGPRsForWavesPerEU: 102
; NumVGPRsForWavesPerEU: 128
; Occupancy: 2
; WaveLimiterHint : 0
; COMPUTE_PGM_RSRC2:SCRATCH_EN: 1
; COMPUTE_PGM_RSRC2:USER_SGPR: 6
; COMPUTE_PGM_RSRC2:TRAP_HANDLER: 0
; COMPUTE_PGM_RSRC2:TGID_X_EN: 1
; COMPUTE_PGM_RSRC2:TGID_Y_EN: 0
; COMPUTE_PGM_RSRC2:TGID_Z_EN: 0
; COMPUTE_PGM_RSRC2:TIDIG_COMP_CNT: 0
	.section	.text._ZN2ck16tensor_operation6device12_GLOBAL__N_137kernel_grouped_conv_fwd_dl_multiple_dINS_32GridwiseGemmDlMultipleD_km_kn_mnILi256EDF16_fNS_5TupleIJDF16_EEEDF16_NS0_12element_wise11PassThroughES8_NS7_7AddReluELNS_25InMemoryDataOperationEnumE0ENS_16TensorDescriptorINS5_IJNS_5EmbedINS5_IJiiiiiEEESD_Lb0EEENS_11PassThroughIiEENS_3PadIiiiLb0EEESI_SI_SG_SG_NSC_INS5_IJiiEEESJ_Lb0EEESK_SK_SG_NS_23Merge_v2_magic_divisionINS5_IJiiiiEEEEESN_NS_8RightPadIiiLb0EEESP_NS_7UnMergeISJ_Lb0EEESG_EEENS5_IJNS_8SequenceIJLi0EEEENST_IJLi1EEEENST_IJLi2EEEENST_IJLi3EEEENST_IJLi4EEEENST_IJLi5EEEENST_IJLi6EEEENST_IJLi7EEEENST_IJLi8EEEENST_IJLi9EEEENST_IJLi10EEEENST_IJLi11ELi13ELi15ELi17EEEENST_IJLi12ELi14ELi16ELi18EEEENST_IJLi19EEEENST_IJLi20EEEENST_IJLi22EEEENST_IJLi21EEEEEEENS5_IJNST_IJLi1ELi2ELi3ELi4ELi5EEEES10_S11_S12_S13_S14_NST_IJLi11EEEENST_IJLi12ELi13EEEENST_IJLi14ELi15EEEENST_IJLi16ELi17EEEENST_IJLi18EEEES17_S18_S1A_S19_NST_IJLi23ELi24EEEENST_IJLi25EEEEEEENST_IJLi23ELi25ELi24EEEElEENSB_INS5_IJSR_SP_SP_SR_SG_EEENS5_IJSU_SV_SW_SY_SX_EEENS5_IJNST_IJLi1ELi2EEEESX_SY_NST_IJLi5ELi6EEEES11_EEENST_IJLi5ELi7ELi6EEEElEENSB_INS5_IJSK_SP_SP_EEENS5_IJSU_SV_SW_EEENS5_IJS1P_SX_SY_EEENST_IJLi3ELi4EEEElEELi128ELi128ELi16ELi2ELi4ELi4ELi1ENST_IJLi8ELi2EEEES1Z_NST_IJLi8ELi1ELi1ELi2EEEENST_IJLi2ELi1ELi128ELi1EEEENST_IJLi1ELi2ELi0ELi3EEEES22_NST_IJLi4ELi1ELi1ELi2EEEES22_NST_IJLi1ELi1ELi1ELi2EEEES20_S21_S22_S22_S23_S22_S24_NST_IJLi0ELi1ELi2ELi3ELi4ELi5EEEELi5ELi4EEEDF16_NS5_IJPKDF16_EEEDF16_S8_S8_S9_NSB_INS5_IJSE_SG_SI_SI_SI_SG_SG_SK_SK_SK_SG_SN_SN_SP_SP_SR_SG_SG_NSQ_INS5_IJiNS_17integral_constantIiLi128EEEEEELb0EEENSF_INS2A_IiLi2EEEEEEEENS5_IJSU_SV_SW_SX_SY_SZ_S10_S11_S12_S13_S14_S15_S16_S17_S18_S19_S1A_NST_IJLi23EEEES1J_NST_IJLi24EEEEEEENS5_IJS1C_S10_S11_S12_S13_S14_S1D_S1E_S1F_S1G_S1H_S17_S18_S1A_S19_S1I_S1J_NST_IJLi26EEEENST_IJLi27ELi28EEEENST_IJLi29EEEEEEENST_IJLi26ELi27ELi28ELi29EEEElEENSB_INS5_IJSR_SP_SP_SR_SG_SG_S2D_S2F_EEENS5_IJSU_SV_SW_SY_SX_SZ_S11_S10_EEENS5_IJS1P_SX_SY_S1Q_S11_S12_NST_IJLi9ELi10EEEES1D_EEENST_IJLi8ELi9ELi10ELi11EEEElEENS5_IJNSB_INS5_IJSK_SP_SP_NSQ_INS5_IJiS2E_NS2A_IiLi64EEEEEELb0EEES2Y_EEENS5_IJSU_SV_SW_SX_SY_EEENS5_IJS1P_SX_SY_NST_IJLi5ELi6ELi7EEEENST_IJLi8ELi9ELi10EEEEEEENST_IJLi5ELi6ELi7ELi8ELi9ELi10EEEElEEEEES35_NS_31BlockToCTileMap_M00_N00_M01_N01ILi128ELi128ES1Y_Lb0EEENS1_30ComputePtrOffsetOfStridedBatchILi1ELi1ELi1EvEELb0ELb1EEEvPKT0_S3D_T1_PT2_T3_T4_T5_iT6_T7_T8_T9_T10_T11_,"axG",@progbits,_ZN2ck16tensor_operation6device12_GLOBAL__N_137kernel_grouped_conv_fwd_dl_multiple_dINS_32GridwiseGemmDlMultipleD_km_kn_mnILi256EDF16_fNS_5TupleIJDF16_EEEDF16_NS0_12element_wise11PassThroughES8_NS7_7AddReluELNS_25InMemoryDataOperationEnumE0ENS_16TensorDescriptorINS5_IJNS_5EmbedINS5_IJiiiiiEEESD_Lb0EEENS_11PassThroughIiEENS_3PadIiiiLb0EEESI_SI_SG_SG_NSC_INS5_IJiiEEESJ_Lb0EEESK_SK_SG_NS_23Merge_v2_magic_divisionINS5_IJiiiiEEEEESN_NS_8RightPadIiiLb0EEESP_NS_7UnMergeISJ_Lb0EEESG_EEENS5_IJNS_8SequenceIJLi0EEEENST_IJLi1EEEENST_IJLi2EEEENST_IJLi3EEEENST_IJLi4EEEENST_IJLi5EEEENST_IJLi6EEEENST_IJLi7EEEENST_IJLi8EEEENST_IJLi9EEEENST_IJLi10EEEENST_IJLi11ELi13ELi15ELi17EEEENST_IJLi12ELi14ELi16ELi18EEEENST_IJLi19EEEENST_IJLi20EEEENST_IJLi22EEEENST_IJLi21EEEEEEENS5_IJNST_IJLi1ELi2ELi3ELi4ELi5EEEES10_S11_S12_S13_S14_NST_IJLi11EEEENST_IJLi12ELi13EEEENST_IJLi14ELi15EEEENST_IJLi16ELi17EEEENST_IJLi18EEEES17_S18_S1A_S19_NST_IJLi23ELi24EEEENST_IJLi25EEEEEEENST_IJLi23ELi25ELi24EEEElEENSB_INS5_IJSR_SP_SP_SR_SG_EEENS5_IJSU_SV_SW_SY_SX_EEENS5_IJNST_IJLi1ELi2EEEESX_SY_NST_IJLi5ELi6EEEES11_EEENST_IJLi5ELi7ELi6EEEElEENSB_INS5_IJSK_SP_SP_EEENS5_IJSU_SV_SW_EEENS5_IJS1P_SX_SY_EEENST_IJLi3ELi4EEEElEELi128ELi128ELi16ELi2ELi4ELi4ELi1ENST_IJLi8ELi2EEEES1Z_NST_IJLi8ELi1ELi1ELi2EEEENST_IJLi2ELi1ELi128ELi1EEEENST_IJLi1ELi2ELi0ELi3EEEES22_NST_IJLi4ELi1ELi1ELi2EEEES22_NST_IJLi1ELi1ELi1ELi2EEEES20_S21_S22_S22_S23_S22_S24_NST_IJLi0ELi1ELi2ELi3ELi4ELi5EEEELi5ELi4EEEDF16_NS5_IJPKDF16_EEEDF16_S8_S8_S9_NSB_INS5_IJSE_SG_SI_SI_SI_SG_SG_SK_SK_SK_SG_SN_SN_SP_SP_SR_SG_SG_NSQ_INS5_IJiNS_17integral_constantIiLi128EEEEEELb0EEENSF_INS2A_IiLi2EEEEEEEENS5_IJSU_SV_SW_SX_SY_SZ_S10_S11_S12_S13_S14_S15_S16_S17_S18_S19_S1A_NST_IJLi23EEEES1J_NST_IJLi24EEEEEEENS5_IJS1C_S10_S11_S12_S13_S14_S1D_S1E_S1F_S1G_S1H_S17_S18_S1A_S19_S1I_S1J_NST_IJLi26EEEENST_IJLi27ELi28EEEENST_IJLi29EEEEEEENST_IJLi26ELi27ELi28ELi29EEEElEENSB_INS5_IJSR_SP_SP_SR_SG_SG_S2D_S2F_EEENS5_IJSU_SV_SW_SY_SX_SZ_S11_S10_EEENS5_IJS1P_SX_SY_S1Q_S11_S12_NST_IJLi9ELi10EEEES1D_EEENST_IJLi8ELi9ELi10ELi11EEEElEENS5_IJNSB_INS5_IJSK_SP_SP_NSQ_INS5_IJiS2E_NS2A_IiLi64EEEEEELb0EEES2Y_EEENS5_IJSU_SV_SW_SX_SY_EEENS5_IJS1P_SX_SY_NST_IJLi5ELi6ELi7EEEENST_IJLi8ELi9ELi10EEEEEEENST_IJLi5ELi6ELi7ELi8ELi9ELi10EEEElEEEEES35_NS_31BlockToCTileMap_M00_N00_M01_N01ILi128ELi128ES1Y_Lb0EEENS1_30ComputePtrOffsetOfStridedBatchILi1ELi1ELi1EvEELb0ELb1EEEvPKT0_S3D_T1_PT2_T3_T4_T5_iT6_T7_T8_T9_T10_T11_,comdat
	.globl	_ZN2ck16tensor_operation6device12_GLOBAL__N_137kernel_grouped_conv_fwd_dl_multiple_dINS_32GridwiseGemmDlMultipleD_km_kn_mnILi256EDF16_fNS_5TupleIJDF16_EEEDF16_NS0_12element_wise11PassThroughES8_NS7_7AddReluELNS_25InMemoryDataOperationEnumE0ENS_16TensorDescriptorINS5_IJNS_5EmbedINS5_IJiiiiiEEESD_Lb0EEENS_11PassThroughIiEENS_3PadIiiiLb0EEESI_SI_SG_SG_NSC_INS5_IJiiEEESJ_Lb0EEESK_SK_SG_NS_23Merge_v2_magic_divisionINS5_IJiiiiEEEEESN_NS_8RightPadIiiLb0EEESP_NS_7UnMergeISJ_Lb0EEESG_EEENS5_IJNS_8SequenceIJLi0EEEENST_IJLi1EEEENST_IJLi2EEEENST_IJLi3EEEENST_IJLi4EEEENST_IJLi5EEEENST_IJLi6EEEENST_IJLi7EEEENST_IJLi8EEEENST_IJLi9EEEENST_IJLi10EEEENST_IJLi11ELi13ELi15ELi17EEEENST_IJLi12ELi14ELi16ELi18EEEENST_IJLi19EEEENST_IJLi20EEEENST_IJLi22EEEENST_IJLi21EEEEEEENS5_IJNST_IJLi1ELi2ELi3ELi4ELi5EEEES10_S11_S12_S13_S14_NST_IJLi11EEEENST_IJLi12ELi13EEEENST_IJLi14ELi15EEEENST_IJLi16ELi17EEEENST_IJLi18EEEES17_S18_S1A_S19_NST_IJLi23ELi24EEEENST_IJLi25EEEEEEENST_IJLi23ELi25ELi24EEEElEENSB_INS5_IJSR_SP_SP_SR_SG_EEENS5_IJSU_SV_SW_SY_SX_EEENS5_IJNST_IJLi1ELi2EEEESX_SY_NST_IJLi5ELi6EEEES11_EEENST_IJLi5ELi7ELi6EEEElEENSB_INS5_IJSK_SP_SP_EEENS5_IJSU_SV_SW_EEENS5_IJS1P_SX_SY_EEENST_IJLi3ELi4EEEElEELi128ELi128ELi16ELi2ELi4ELi4ELi1ENST_IJLi8ELi2EEEES1Z_NST_IJLi8ELi1ELi1ELi2EEEENST_IJLi2ELi1ELi128ELi1EEEENST_IJLi1ELi2ELi0ELi3EEEES22_NST_IJLi4ELi1ELi1ELi2EEEES22_NST_IJLi1ELi1ELi1ELi2EEEES20_S21_S22_S22_S23_S22_S24_NST_IJLi0ELi1ELi2ELi3ELi4ELi5EEEELi5ELi4EEEDF16_NS5_IJPKDF16_EEEDF16_S8_S8_S9_NSB_INS5_IJSE_SG_SI_SI_SI_SG_SG_SK_SK_SK_SG_SN_SN_SP_SP_SR_SG_SG_NSQ_INS5_IJiNS_17integral_constantIiLi128EEEEEELb0EEENSF_INS2A_IiLi2EEEEEEEENS5_IJSU_SV_SW_SX_SY_SZ_S10_S11_S12_S13_S14_S15_S16_S17_S18_S19_S1A_NST_IJLi23EEEES1J_NST_IJLi24EEEEEEENS5_IJS1C_S10_S11_S12_S13_S14_S1D_S1E_S1F_S1G_S1H_S17_S18_S1A_S19_S1I_S1J_NST_IJLi26EEEENST_IJLi27ELi28EEEENST_IJLi29EEEEEEENST_IJLi26ELi27ELi28ELi29EEEElEENSB_INS5_IJSR_SP_SP_SR_SG_SG_S2D_S2F_EEENS5_IJSU_SV_SW_SY_SX_SZ_S11_S10_EEENS5_IJS1P_SX_SY_S1Q_S11_S12_NST_IJLi9ELi10EEEES1D_EEENST_IJLi8ELi9ELi10ELi11EEEElEENS5_IJNSB_INS5_IJSK_SP_SP_NSQ_INS5_IJiS2E_NS2A_IiLi64EEEEEELb0EEES2Y_EEENS5_IJSU_SV_SW_SX_SY_EEENS5_IJS1P_SX_SY_NST_IJLi5ELi6ELi7EEEENST_IJLi8ELi9ELi10EEEEEEENST_IJLi5ELi6ELi7ELi8ELi9ELi10EEEElEEEEES35_NS_31BlockToCTileMap_M00_N00_M01_N01ILi128ELi128ES1Y_Lb0EEENS1_30ComputePtrOffsetOfStridedBatchILi1ELi1ELi1EvEELb0ELb1EEEvPKT0_S3D_T1_PT2_T3_T4_T5_iT6_T7_T8_T9_T10_T11_ ; -- Begin function _ZN2ck16tensor_operation6device12_GLOBAL__N_137kernel_grouped_conv_fwd_dl_multiple_dINS_32GridwiseGemmDlMultipleD_km_kn_mnILi256EDF16_fNS_5TupleIJDF16_EEEDF16_NS0_12element_wise11PassThroughES8_NS7_7AddReluELNS_25InMemoryDataOperationEnumE0ENS_16TensorDescriptorINS5_IJNS_5EmbedINS5_IJiiiiiEEESD_Lb0EEENS_11PassThroughIiEENS_3PadIiiiLb0EEESI_SI_SG_SG_NSC_INS5_IJiiEEESJ_Lb0EEESK_SK_SG_NS_23Merge_v2_magic_divisionINS5_IJiiiiEEEEESN_NS_8RightPadIiiLb0EEESP_NS_7UnMergeISJ_Lb0EEESG_EEENS5_IJNS_8SequenceIJLi0EEEENST_IJLi1EEEENST_IJLi2EEEENST_IJLi3EEEENST_IJLi4EEEENST_IJLi5EEEENST_IJLi6EEEENST_IJLi7EEEENST_IJLi8EEEENST_IJLi9EEEENST_IJLi10EEEENST_IJLi11ELi13ELi15ELi17EEEENST_IJLi12ELi14ELi16ELi18EEEENST_IJLi19EEEENST_IJLi20EEEENST_IJLi22EEEENST_IJLi21EEEEEEENS5_IJNST_IJLi1ELi2ELi3ELi4ELi5EEEES10_S11_S12_S13_S14_NST_IJLi11EEEENST_IJLi12ELi13EEEENST_IJLi14ELi15EEEENST_IJLi16ELi17EEEENST_IJLi18EEEES17_S18_S1A_S19_NST_IJLi23ELi24EEEENST_IJLi25EEEEEEENST_IJLi23ELi25ELi24EEEElEENSB_INS5_IJSR_SP_SP_SR_SG_EEENS5_IJSU_SV_SW_SY_SX_EEENS5_IJNST_IJLi1ELi2EEEESX_SY_NST_IJLi5ELi6EEEES11_EEENST_IJLi5ELi7ELi6EEEElEENSB_INS5_IJSK_SP_SP_EEENS5_IJSU_SV_SW_EEENS5_IJS1P_SX_SY_EEENST_IJLi3ELi4EEEElEELi128ELi128ELi16ELi2ELi4ELi4ELi1ENST_IJLi8ELi2EEEES1Z_NST_IJLi8ELi1ELi1ELi2EEEENST_IJLi2ELi1ELi128ELi1EEEENST_IJLi1ELi2ELi0ELi3EEEES22_NST_IJLi4ELi1ELi1ELi2EEEES22_NST_IJLi1ELi1ELi1ELi2EEEES20_S21_S22_S22_S23_S22_S24_NST_IJLi0ELi1ELi2ELi3ELi4ELi5EEEELi5ELi4EEEDF16_NS5_IJPKDF16_EEEDF16_S8_S8_S9_NSB_INS5_IJSE_SG_SI_SI_SI_SG_SG_SK_SK_SK_SG_SN_SN_SP_SP_SR_SG_SG_NSQ_INS5_IJiNS_17integral_constantIiLi128EEEEEELb0EEENSF_INS2A_IiLi2EEEEEEEENS5_IJSU_SV_SW_SX_SY_SZ_S10_S11_S12_S13_S14_S15_S16_S17_S18_S19_S1A_NST_IJLi23EEEES1J_NST_IJLi24EEEEEEENS5_IJS1C_S10_S11_S12_S13_S14_S1D_S1E_S1F_S1G_S1H_S17_S18_S1A_S19_S1I_S1J_NST_IJLi26EEEENST_IJLi27ELi28EEEENST_IJLi29EEEEEEENST_IJLi26ELi27ELi28ELi29EEEElEENSB_INS5_IJSR_SP_SP_SR_SG_SG_S2D_S2F_EEENS5_IJSU_SV_SW_SY_SX_SZ_S11_S10_EEENS5_IJS1P_SX_SY_S1Q_S11_S12_NST_IJLi9ELi10EEEES1D_EEENST_IJLi8ELi9ELi10ELi11EEEElEENS5_IJNSB_INS5_IJSK_SP_SP_NSQ_INS5_IJiS2E_NS2A_IiLi64EEEEEELb0EEES2Y_EEENS5_IJSU_SV_SW_SX_SY_EEENS5_IJS1P_SX_SY_NST_IJLi5ELi6ELi7EEEENST_IJLi8ELi9ELi10EEEEEEENST_IJLi5ELi6ELi7ELi8ELi9ELi10EEEElEEEEES35_NS_31BlockToCTileMap_M00_N00_M01_N01ILi128ELi128ES1Y_Lb0EEENS1_30ComputePtrOffsetOfStridedBatchILi1ELi1ELi1EvEELb0ELb1EEEvPKT0_S3D_T1_PT2_T3_T4_T5_iT6_T7_T8_T9_T10_T11_
	.p2align	8
	.type	_ZN2ck16tensor_operation6device12_GLOBAL__N_137kernel_grouped_conv_fwd_dl_multiple_dINS_32GridwiseGemmDlMultipleD_km_kn_mnILi256EDF16_fNS_5TupleIJDF16_EEEDF16_NS0_12element_wise11PassThroughES8_NS7_7AddReluELNS_25InMemoryDataOperationEnumE0ENS_16TensorDescriptorINS5_IJNS_5EmbedINS5_IJiiiiiEEESD_Lb0EEENS_11PassThroughIiEENS_3PadIiiiLb0EEESI_SI_SG_SG_NSC_INS5_IJiiEEESJ_Lb0EEESK_SK_SG_NS_23Merge_v2_magic_divisionINS5_IJiiiiEEEEESN_NS_8RightPadIiiLb0EEESP_NS_7UnMergeISJ_Lb0EEESG_EEENS5_IJNS_8SequenceIJLi0EEEENST_IJLi1EEEENST_IJLi2EEEENST_IJLi3EEEENST_IJLi4EEEENST_IJLi5EEEENST_IJLi6EEEENST_IJLi7EEEENST_IJLi8EEEENST_IJLi9EEEENST_IJLi10EEEENST_IJLi11ELi13ELi15ELi17EEEENST_IJLi12ELi14ELi16ELi18EEEENST_IJLi19EEEENST_IJLi20EEEENST_IJLi22EEEENST_IJLi21EEEEEEENS5_IJNST_IJLi1ELi2ELi3ELi4ELi5EEEES10_S11_S12_S13_S14_NST_IJLi11EEEENST_IJLi12ELi13EEEENST_IJLi14ELi15EEEENST_IJLi16ELi17EEEENST_IJLi18EEEES17_S18_S1A_S19_NST_IJLi23ELi24EEEENST_IJLi25EEEEEEENST_IJLi23ELi25ELi24EEEElEENSB_INS5_IJSR_SP_SP_SR_SG_EEENS5_IJSU_SV_SW_SY_SX_EEENS5_IJNST_IJLi1ELi2EEEESX_SY_NST_IJLi5ELi6EEEES11_EEENST_IJLi5ELi7ELi6EEEElEENSB_INS5_IJSK_SP_SP_EEENS5_IJSU_SV_SW_EEENS5_IJS1P_SX_SY_EEENST_IJLi3ELi4EEEElEELi128ELi128ELi16ELi2ELi4ELi4ELi1ENST_IJLi8ELi2EEEES1Z_NST_IJLi8ELi1ELi1ELi2EEEENST_IJLi2ELi1ELi128ELi1EEEENST_IJLi1ELi2ELi0ELi3EEEES22_NST_IJLi4ELi1ELi1ELi2EEEES22_NST_IJLi1ELi1ELi1ELi2EEEES20_S21_S22_S22_S23_S22_S24_NST_IJLi0ELi1ELi2ELi3ELi4ELi5EEEELi5ELi4EEEDF16_NS5_IJPKDF16_EEEDF16_S8_S8_S9_NSB_INS5_IJSE_SG_SI_SI_SI_SG_SG_SK_SK_SK_SG_SN_SN_SP_SP_SR_SG_SG_NSQ_INS5_IJiNS_17integral_constantIiLi128EEEEEELb0EEENSF_INS2A_IiLi2EEEEEEEENS5_IJSU_SV_SW_SX_SY_SZ_S10_S11_S12_S13_S14_S15_S16_S17_S18_S19_S1A_NST_IJLi23EEEES1J_NST_IJLi24EEEEEEENS5_IJS1C_S10_S11_S12_S13_S14_S1D_S1E_S1F_S1G_S1H_S17_S18_S1A_S19_S1I_S1J_NST_IJLi26EEEENST_IJLi27ELi28EEEENST_IJLi29EEEEEEENST_IJLi26ELi27ELi28ELi29EEEElEENSB_INS5_IJSR_SP_SP_SR_SG_SG_S2D_S2F_EEENS5_IJSU_SV_SW_SY_SX_SZ_S11_S10_EEENS5_IJS1P_SX_SY_S1Q_S11_S12_NST_IJLi9ELi10EEEES1D_EEENST_IJLi8ELi9ELi10ELi11EEEElEENS5_IJNSB_INS5_IJSK_SP_SP_NSQ_INS5_IJiS2E_NS2A_IiLi64EEEEEELb0EEES2Y_EEENS5_IJSU_SV_SW_SX_SY_EEENS5_IJS1P_SX_SY_NST_IJLi5ELi6ELi7EEEENST_IJLi8ELi9ELi10EEEEEEENST_IJLi5ELi6ELi7ELi8ELi9ELi10EEEElEEEEES35_NS_31BlockToCTileMap_M00_N00_M01_N01ILi128ELi128ES1Y_Lb0EEENS1_30ComputePtrOffsetOfStridedBatchILi1ELi1ELi1EvEELb0ELb1EEEvPKT0_S3D_T1_PT2_T3_T4_T5_iT6_T7_T8_T9_T10_T11_,@function
_ZN2ck16tensor_operation6device12_GLOBAL__N_137kernel_grouped_conv_fwd_dl_multiple_dINS_32GridwiseGemmDlMultipleD_km_kn_mnILi256EDF16_fNS_5TupleIJDF16_EEEDF16_NS0_12element_wise11PassThroughES8_NS7_7AddReluELNS_25InMemoryDataOperationEnumE0ENS_16TensorDescriptorINS5_IJNS_5EmbedINS5_IJiiiiiEEESD_Lb0EEENS_11PassThroughIiEENS_3PadIiiiLb0EEESI_SI_SG_SG_NSC_INS5_IJiiEEESJ_Lb0EEESK_SK_SG_NS_23Merge_v2_magic_divisionINS5_IJiiiiEEEEESN_NS_8RightPadIiiLb0EEESP_NS_7UnMergeISJ_Lb0EEESG_EEENS5_IJNS_8SequenceIJLi0EEEENST_IJLi1EEEENST_IJLi2EEEENST_IJLi3EEEENST_IJLi4EEEENST_IJLi5EEEENST_IJLi6EEEENST_IJLi7EEEENST_IJLi8EEEENST_IJLi9EEEENST_IJLi10EEEENST_IJLi11ELi13ELi15ELi17EEEENST_IJLi12ELi14ELi16ELi18EEEENST_IJLi19EEEENST_IJLi20EEEENST_IJLi22EEEENST_IJLi21EEEEEEENS5_IJNST_IJLi1ELi2ELi3ELi4ELi5EEEES10_S11_S12_S13_S14_NST_IJLi11EEEENST_IJLi12ELi13EEEENST_IJLi14ELi15EEEENST_IJLi16ELi17EEEENST_IJLi18EEEES17_S18_S1A_S19_NST_IJLi23ELi24EEEENST_IJLi25EEEEEEENST_IJLi23ELi25ELi24EEEElEENSB_INS5_IJSR_SP_SP_SR_SG_EEENS5_IJSU_SV_SW_SY_SX_EEENS5_IJNST_IJLi1ELi2EEEESX_SY_NST_IJLi5ELi6EEEES11_EEENST_IJLi5ELi7ELi6EEEElEENSB_INS5_IJSK_SP_SP_EEENS5_IJSU_SV_SW_EEENS5_IJS1P_SX_SY_EEENST_IJLi3ELi4EEEElEELi128ELi128ELi16ELi2ELi4ELi4ELi1ENST_IJLi8ELi2EEEES1Z_NST_IJLi8ELi1ELi1ELi2EEEENST_IJLi2ELi1ELi128ELi1EEEENST_IJLi1ELi2ELi0ELi3EEEES22_NST_IJLi4ELi1ELi1ELi2EEEES22_NST_IJLi1ELi1ELi1ELi2EEEES20_S21_S22_S22_S23_S22_S24_NST_IJLi0ELi1ELi2ELi3ELi4ELi5EEEELi5ELi4EEEDF16_NS5_IJPKDF16_EEEDF16_S8_S8_S9_NSB_INS5_IJSE_SG_SI_SI_SI_SG_SG_SK_SK_SK_SG_SN_SN_SP_SP_SR_SG_SG_NSQ_INS5_IJiNS_17integral_constantIiLi128EEEEEELb0EEENSF_INS2A_IiLi2EEEEEEEENS5_IJSU_SV_SW_SX_SY_SZ_S10_S11_S12_S13_S14_S15_S16_S17_S18_S19_S1A_NST_IJLi23EEEES1J_NST_IJLi24EEEEEEENS5_IJS1C_S10_S11_S12_S13_S14_S1D_S1E_S1F_S1G_S1H_S17_S18_S1A_S19_S1I_S1J_NST_IJLi26EEEENST_IJLi27ELi28EEEENST_IJLi29EEEEEEENST_IJLi26ELi27ELi28ELi29EEEElEENSB_INS5_IJSR_SP_SP_SR_SG_SG_S2D_S2F_EEENS5_IJSU_SV_SW_SY_SX_SZ_S11_S10_EEENS5_IJS1P_SX_SY_S1Q_S11_S12_NST_IJLi9ELi10EEEES1D_EEENST_IJLi8ELi9ELi10ELi11EEEElEENS5_IJNSB_INS5_IJSK_SP_SP_NSQ_INS5_IJiS2E_NS2A_IiLi64EEEEEELb0EEES2Y_EEENS5_IJSU_SV_SW_SX_SY_EEENS5_IJS1P_SX_SY_NST_IJLi5ELi6ELi7EEEENST_IJLi8ELi9ELi10EEEEEEENST_IJLi5ELi6ELi7ELi8ELi9ELi10EEEElEEEEES35_NS_31BlockToCTileMap_M00_N00_M01_N01ILi128ELi128ES1Y_Lb0EEENS1_30ComputePtrOffsetOfStridedBatchILi1ELi1ELi1EvEELb0ELb1EEEvPKT0_S3D_T1_PT2_T3_T4_T5_iT6_T7_T8_T9_T10_T11_: ; @_ZN2ck16tensor_operation6device12_GLOBAL__N_137kernel_grouped_conv_fwd_dl_multiple_dINS_32GridwiseGemmDlMultipleD_km_kn_mnILi256EDF16_fNS_5TupleIJDF16_EEEDF16_NS0_12element_wise11PassThroughES8_NS7_7AddReluELNS_25InMemoryDataOperationEnumE0ENS_16TensorDescriptorINS5_IJNS_5EmbedINS5_IJiiiiiEEESD_Lb0EEENS_11PassThroughIiEENS_3PadIiiiLb0EEESI_SI_SG_SG_NSC_INS5_IJiiEEESJ_Lb0EEESK_SK_SG_NS_23Merge_v2_magic_divisionINS5_IJiiiiEEEEESN_NS_8RightPadIiiLb0EEESP_NS_7UnMergeISJ_Lb0EEESG_EEENS5_IJNS_8SequenceIJLi0EEEENST_IJLi1EEEENST_IJLi2EEEENST_IJLi3EEEENST_IJLi4EEEENST_IJLi5EEEENST_IJLi6EEEENST_IJLi7EEEENST_IJLi8EEEENST_IJLi9EEEENST_IJLi10EEEENST_IJLi11ELi13ELi15ELi17EEEENST_IJLi12ELi14ELi16ELi18EEEENST_IJLi19EEEENST_IJLi20EEEENST_IJLi22EEEENST_IJLi21EEEEEEENS5_IJNST_IJLi1ELi2ELi3ELi4ELi5EEEES10_S11_S12_S13_S14_NST_IJLi11EEEENST_IJLi12ELi13EEEENST_IJLi14ELi15EEEENST_IJLi16ELi17EEEENST_IJLi18EEEES17_S18_S1A_S19_NST_IJLi23ELi24EEEENST_IJLi25EEEEEEENST_IJLi23ELi25ELi24EEEElEENSB_INS5_IJSR_SP_SP_SR_SG_EEENS5_IJSU_SV_SW_SY_SX_EEENS5_IJNST_IJLi1ELi2EEEESX_SY_NST_IJLi5ELi6EEEES11_EEENST_IJLi5ELi7ELi6EEEElEENSB_INS5_IJSK_SP_SP_EEENS5_IJSU_SV_SW_EEENS5_IJS1P_SX_SY_EEENST_IJLi3ELi4EEEElEELi128ELi128ELi16ELi2ELi4ELi4ELi1ENST_IJLi8ELi2EEEES1Z_NST_IJLi8ELi1ELi1ELi2EEEENST_IJLi2ELi1ELi128ELi1EEEENST_IJLi1ELi2ELi0ELi3EEEES22_NST_IJLi4ELi1ELi1ELi2EEEES22_NST_IJLi1ELi1ELi1ELi2EEEES20_S21_S22_S22_S23_S22_S24_NST_IJLi0ELi1ELi2ELi3ELi4ELi5EEEELi5ELi4EEEDF16_NS5_IJPKDF16_EEEDF16_S8_S8_S9_NSB_INS5_IJSE_SG_SI_SI_SI_SG_SG_SK_SK_SK_SG_SN_SN_SP_SP_SR_SG_SG_NSQ_INS5_IJiNS_17integral_constantIiLi128EEEEEELb0EEENSF_INS2A_IiLi2EEEEEEEENS5_IJSU_SV_SW_SX_SY_SZ_S10_S11_S12_S13_S14_S15_S16_S17_S18_S19_S1A_NST_IJLi23EEEES1J_NST_IJLi24EEEEEEENS5_IJS1C_S10_S11_S12_S13_S14_S1D_S1E_S1F_S1G_S1H_S17_S18_S1A_S19_S1I_S1J_NST_IJLi26EEEENST_IJLi27ELi28EEEENST_IJLi29EEEEEEENST_IJLi26ELi27ELi28ELi29EEEElEENSB_INS5_IJSR_SP_SP_SR_SG_SG_S2D_S2F_EEENS5_IJSU_SV_SW_SY_SX_SZ_S11_S10_EEENS5_IJS1P_SX_SY_S1Q_S11_S12_NST_IJLi9ELi10EEEES1D_EEENST_IJLi8ELi9ELi10ELi11EEEElEENS5_IJNSB_INS5_IJSK_SP_SP_NSQ_INS5_IJiS2E_NS2A_IiLi64EEEEEELb0EEES2Y_EEENS5_IJSU_SV_SW_SX_SY_EEENS5_IJS1P_SX_SY_NST_IJLi5ELi6ELi7EEEENST_IJLi8ELi9ELi10EEEEEEENST_IJLi5ELi6ELi7ELi8ELi9ELi10EEEElEEEEES35_NS_31BlockToCTileMap_M00_N00_M01_N01ILi128ELi128ES1Y_Lb0EEENS1_30ComputePtrOffsetOfStridedBatchILi1ELi1ELi1EvEELb0ELb1EEEvPKT0_S3D_T1_PT2_T3_T4_T5_iT6_T7_T8_T9_T10_T11_
; %bb.0:
	s_load_dwordx8 s[24:31], s[4:5], 0x0
	s_load_dword s7, s[4:5], 0x24
	s_load_dwordx4 s[44:47], s[4:5], 0x3c
	s_load_dword s80, s[4:5], 0x4c
	s_load_dword s33, s[4:5], 0x58
	s_load_dwordx4 s[52:55], s[4:5], 0x54
	s_waitcnt lgkmcnt(0)
	s_abs_i32 s9, s7
	v_cvt_f32_u32_e32 v1, s9
	s_load_dword s53, s[4:5], 0x64
	s_load_dwordx4 s[56:59], s[4:5], 0x60
	s_load_dword s55, s[4:5], 0x70
	s_load_dwordx4 s[60:63], s[4:5], 0x6c
	s_load_dword s8, s[4:5], 0x300
	s_load_dwordx2 s[34:35], s[4:5], 0x88
	s_load_dwordx2 s[76:77], s[4:5], 0x98
	;; [unrolled: 1-line block ×3, first 2 shown]
	s_load_dwordx8 s[16:23], s[4:5], 0xb8
	s_load_dwordx4 s[0:3], s[4:5], 0xd8
	v_rcp_iflag_f32_e32 v1, v1
	s_waitcnt lgkmcnt(0)
	s_xor_b32 s3, s8, s7
	s_abs_i32 s7, s8
	v_mul_f32_e32 v1, 0x4f7ffffe, v1
	v_cvt_u32_f32_e32 v1, v1
	s_sub_i32 s8, 0, s9
	s_ashr_i32 s3, s3, 31
	v_readfirstlane_b32 s10, v1
	s_mul_i32 s8, s8, s10
	s_mul_hi_u32 s8, s10, s8
	s_add_i32 s10, s10, s8
	s_mul_hi_u32 s8, s7, s10
	s_mul_i32 s10, s8, s9
	s_sub_i32 s7, s7, s10
	s_add_i32 s10, s8, 1
	s_sub_i32 s11, s7, s9
	s_cmp_ge_u32 s7, s9
	s_cselect_b32 s8, s10, s8
	s_cselect_b32 s7, s11, s7
	s_add_i32 s10, s8, 1
	s_cmp_ge_u32 s7, s9
	s_cselect_b32 s7, s10, s8
	s_xor_b32 s7, s7, s3
	s_sub_i32 s3, s7, s3
	s_abs_i32 s7, s3
	v_cvt_f32_u32_e32 v1, s7
	s_load_dwordx8 s[8:15], s[4:5], 0xec
	s_load_dwordx4 s[64:67], s[4:5], 0x298
	s_load_dwordx4 s[72:75], s[4:5], 0x2ac
	s_waitcnt lgkmcnt(0)
	s_sub_i32 s15, 0, s7
	s_abs_i32 s11, s6
	v_rcp_iflag_f32_e32 v1, v1
	s_xor_b32 s3, s6, s3
	s_ashr_i32 s3, s3, 31
	s_load_dwordx4 s[68:71], s[4:5], 0x2c0
	s_load_dwordx8 s[36:43], s[4:5], 0x2d8
	v_mul_f32_e32 v1, 0x4f7ffffe, v1
	v_cvt_u32_f32_e32 v1, v1
	v_readfirstlane_b32 s19, v1
	s_mul_i32 s15, s15, s19
	s_mul_hi_u32 s15, s19, s15
	s_add_i32 s19, s19, s15
	s_mul_hi_u32 s15, s11, s19
	s_mul_i32 s19, s15, s7
	s_sub_i32 s11, s11, s19
	s_add_i32 s19, s15, 1
	s_sub_i32 s23, s11, s7
	s_cmp_ge_u32 s11, s7
	s_cselect_b32 s15, s19, s15
	s_cselect_b32 s11, s23, s11
	s_add_i32 s19, s15, 1
	s_cmp_ge_u32 s11, s7
	s_cselect_b32 s7, s19, s15
	s_xor_b32 s7, s7, s3
	s_sub_i32 s3, s7, s3
	s_ashr_i32 s7, s3, 31
	s_waitcnt lgkmcnt(0)
	s_mul_i32 s11, s36, s7
	s_mul_hi_u32 s15, s36, s3
	s_add_i32 s11, s15, s11
	s_mul_i32 s15, s37, s3
	s_add_i32 s49, s11, s15
	s_mul_i32 s11, s38, s7
	s_mul_hi_u32 s15, s38, s3
	s_add_i32 s11, s15, s11
	s_mul_i32 s15, s39, s3
	s_add_i32 s39, s11, s15
	;; [unrolled: 5-line block ×3, first 2 shown]
	s_mul_i32 s7, s40, s7
	s_mul_hi_u32 s11, s40, s3
	s_add_i32 s7, s11, s7
	s_mul_i32 s11, s41, s3
	s_mul_i32 s48, s36, s3
	s_add_i32 s37, s7, s11
	s_mul_i32 s36, s40, s3
	s_lshl_b64 s[36:37], s[36:37], 1
	s_add_u32 s36, s28, s36
	s_addc_u32 s19, s29, s37
	s_lshl_b64 s[28:29], s[48:49], 1
	s_mul_i32 s38, s38, s3
	s_add_u32 s28, s24, s28
	s_addc_u32 s29, s25, s29
	s_lshl_b64 s[24:25], s[38:39], 1
	s_mul_i32 s42, s42, s3
	s_add_u32 s40, s26, s24
	s_addc_u32 s7, s27, s25
	s_lshl_b64 s[24:25], s[42:43], 1
	s_add_u32 s24, s30, s24
	s_addc_u32 s11, s31, s25
	s_load_dwordx4 s[48:51], s[4:5], 0x10c
	s_load_dword s3, s[4:5], 0x120
	s_load_dword s25, s[4:5], 0x12c
	;; [unrolled: 1-line block ×3, first 2 shown]
	v_lshlrev_b32_e32 v1, 3, v0
	v_and_b32_e32 v1, 8, v1
	s_mul_hi_u32 s15, s75, s6
	s_add_i32 s15, s6, s15
	s_waitcnt lgkmcnt(0)
	v_mul_lo_u32 v23, s39, v1
	s_lshr_b32 s15, s15, s71
	s_mul_hi_u32 s23, s15, s74
	s_add_i32 s23, s15, s23
	v_mul_hi_u32 v2, v23, s14
	s_lshr_b32 s23, s23, s70
	s_mul_hi_u32 s26, s23, s73
	s_add_i32 s26, s23, s26
	s_mul_i32 s27, s15, s67
	s_lshr_b32 s30, s26, s69
	s_sub_i32 s42, s6, s27
	s_mul_i32 s6, s23, s66
	v_add_u32_e32 v2, v23, v2
	s_mul_hi_u32 s26, s30, s72
	s_sub_i32 s43, s15, s6
	s_mul_i32 s6, s30, s65
	v_lshrrev_b32_e32 v3, s50, v2
	s_load_dword s31, s[4:5], 0x27c
	s_load_dword s41, s[4:5], 0x28c
	s_sub_i32 s23, s23, s6
	s_add_i32 s6, s30, s26
	v_mul_hi_u32 v4, v3, s13
	s_lshr_b32 s6, s6, s68
	s_mul_i32 s57, s6, s64
	s_sub_i32 s30, s30, s57
	s_waitcnt lgkmcnt(0)
	s_mul_i32 s30, s30, s31
	v_add_u32_e32 v4, v3, v4
	s_add_i32 s43, s43, s30
	v_lshrrev_b32_e32 v4, s49, v4
	s_mul_i32 s41, s23, s41
	v_lshrrev_b32_e32 v2, 1, v0
	s_lshl_b32 s23, s43, 7
	v_mul_lo_u32 v5, v4, s9
	v_or_b32_e32 v24, s23, v2
	v_mul_hi_u32 v6, v24, s22
	v_mul_lo_u32 v7, v3, s10
	v_sub_u32_e32 v8, v3, v5
	v_mul_hi_u32 v3, v4, s12
	v_add_u32_e32 v5, v24, v6
	v_lshrrev_b32_e32 v5, s2, v5
	v_mul_hi_u32 v6, v5, s21
	v_add_u32_e32 v3, v4, v3
	v_lshrrev_b32_e32 v9, s48, v3
	v_mul_lo_u32 v3, v9, s8
	v_add_u32_e32 v6, v5, v6
	v_lshrrev_b32_e32 v6, s1, v6
	v_mul_hi_u32 v10, v6, s20
	v_sub_u32_e32 v11, v4, v3
	v_mul_lo_u32 v3, v5, s18
	v_mul_lo_u32 v4, v6, s17
	v_add_u32_e32 v10, v6, v10
	v_lshrrev_b32_e32 v10, s0, v10
	v_sub_u32_e32 v13, v24, v3
	v_sub_u32_e32 v5, v5, v4
	v_mul_lo_u32 v3, v8, s78
	v_mul_lo_u32 v4, v11, s76
	v_mul_lo_u32 v12, v10, s16
	v_sub_u32_e32 v7, v23, v7
	s_load_dword s59, s[4:5], 0x160
	s_load_dword s61, s[4:5], 0x170
	;; [unrolled: 1-line block ×6, first 2 shown]
	s_load_dwordx2 s[26:27], s[4:5], 0x1d0
	s_load_dword s15, s[4:5], 0x1dc
	v_mad_u64_u32 v[19:20], s[0:1], v13, s79, v[3:4]
	v_mul_lo_u32 v3, v9, s34
	v_sub_u32_e32 v6, v6, v12
	v_mad_u64_u32 v[20:21], s[0:1], v5, s77, v[4:5]
	v_mad_u64_u32 v[21:22], s[0:1], v6, s35, v[3:4]
	v_subrev_u32_e32 v3, s55, v19
	v_subrev_u32_e32 v4, s53, v20
	;; [unrolled: 1-line block ×3, first 2 shown]
	v_mul_lo_u32 v6, v10, s44
	v_mul_lo_u32 v4, v4, s46
	;; [unrolled: 1-line block ×4, first 2 shown]
	v_or_b32_e32 v12, 4, v1
	v_mul_lo_u32 v5, v5, s45
	v_mul_lo_u32 v25, s39, v12
	v_add3_u32 v3, v3, v10, v4
	s_waitcnt lgkmcnt(0)
	s_lshl_b32 s30, s59, 1
	v_add3_u32 v10, v3, v6, v5
	v_mul_hi_u32 v3, v25, s14
	s_and_b32 s29, s29, 0xffff
	s_mov_b32 s31, 0x20000
	v_lshlrev_b32_e32 v4, 1, v10
	v_add_u32_e32 v3, v25, v3
	v_lshrrev_b32_e32 v12, s50, v3
	v_mul_hi_u32 v3, v12, s13
	v_mul_lo_u32 v13, v12, s10
	v_mul_lo_u32 v22, s38, v1
	s_add_i32 s42, s42, s41
	v_add_u32_e32 v3, v12, v3
	v_lshrrev_b32_e32 v14, s49, v3
	v_mul_hi_u32 v15, v14, s12
	v_sub_u32_e32 v26, v25, v13
	v_mul_lo_u32 v13, v14, s9
	buffer_load_dwordx4 v[3:6], v4, s[28:31], 0 offen
	v_add_u32_e32 v15, v14, v15
	v_lshrrev_b32_e32 v27, s48, v15
	v_mul_lo_u32 v15, v27, s8
	v_sub_u32_e32 v28, v12, v13
	v_sub_u32_e32 v8, v28, v8
	;; [unrolled: 1-line block ×4, first 2 shown]
	v_mul_lo_u32 v30, v9, s34
	v_mul_lo_u32 v31, v8, s78
	v_sub_u32_e32 v8, v29, v11
	v_mul_lo_u32 v32, v8, s76
	v_sub_u32_e32 v7, v26, v7
	v_mul_lo_u32 v8, v30, s45
	v_mul_lo_u32 v9, v31, s47
	;; [unrolled: 1-line block ×4, first 2 shown]
	s_lshl_b32 s16, s42, 7
	v_or_b32_e32 v33, s16, v2
	v_add3_u32 v7, v9, v7, v8
	v_add3_u32 v34, v7, v11, v10
	v_lshlrev_b32_e32 v7, 1, v34
	buffer_load_dwordx4 v[7:10], v7, s[28:31], 0 offen
	v_mad_u64_u32 v[15:16], s[0:1], v33, s61, v[22:23]
	s_lshl_b32 s42, s6, 1
	s_and_b32 s41, s7, 0xffff
	s_mov_b32 s43, s31
	v_lshlrev_b32_e32 v11, 1, v15
	buffer_load_dwordx4 v[11:14], v11, s[40:43], 0 offen
	s_lshl_b32 s18, s38, 2
	v_add_u32_e32 v35, s18, v15
	v_lshlrev_b32_e32 v15, 1, v35
	buffer_load_dwordx4 v[15:18], v15, s[40:43], 0 offen
	s_sub_i32 s20, s60, s62
	v_cmp_gt_i32_e64 s[0:1], s25, v23
	v_cmp_gt_i32_e64 s[6:7], s20, v19
	v_cmp_gt_i32_e32 vcc, s3, v24
	v_cmp_le_i32_e64 s[2:3], s55, v19
	s_and_b64 s[0:1], s[6:7], s[0:1]
	s_sub_i32 s21, s56, s58
	s_and_b64 s[6:7], s[0:1], s[2:3]
	v_cmp_le_i32_e64 s[0:1], s53, v20
	v_cmp_gt_i32_e64 s[2:3], s21, v20
	s_and_b64 s[0:1], s[0:1], s[2:3]
	s_sub_i32 s22, s52, s54
	s_and_b64 s[6:7], s[6:7], s[0:1]
	v_cmp_le_i32_e64 s[0:1], s33, v21
	v_cmp_gt_i32_e64 s[2:3], s22, v21
	s_and_b64 s[0:1], s[0:1], s[2:3]
	s_and_b64 s[0:1], s[6:7], s[0:1]
	s_and_b64 s[0:1], vcc, s[0:1]
	v_add_u32_e32 v24, v19, v31
	v_add_u32_e32 v31, v20, v32
	v_lshlrev_b32_e32 v2, 2, v2
	v_cmp_gt_i32_e64 s[6:7], s20, v24
	v_cmp_le_i32_e64 s[2:3], s55, v24
	v_add_u32_e32 v30, v21, v30
	s_mul_i32 s38, s38, 12
	s_waitcnt vmcnt(3)
	v_cndmask_b32_e64 v23, 0, v4, s[0:1]
	v_or_b32_e32 v4, 16, v1
	v_mul_lo_u32 v32, s39, v4
	v_lshl_or_b32 v4, v1, 9, v2
	v_cndmask_b32_e64 v6, 0, v6, s[0:1]
	v_cndmask_b32_e64 v5, 0, v5, s[0:1]
	v_mul_hi_u32 v2, v32, s14
	v_cndmask_b32_e64 v3, 0, v3, s[0:1]
	v_cmp_gt_i32_e64 s[0:1], s25, v25
	s_and_b64 s[0:1], s[6:7], s[0:1]
	v_add_u32_e32 v2, v32, v2
	s_and_b64 s[6:7], s[0:1], s[2:3]
	v_cmp_le_i32_e64 s[0:1], s53, v31
	v_cmp_gt_i32_e64 s[2:3], s21, v31
	ds_write2st64_b32 v4, v3, v23 offset1:2
	v_lshrrev_b32_e32 v3, s50, v2
	s_and_b64 s[0:1], s[0:1], s[2:3]
	v_mul_hi_u32 v2, v3, s13
	s_and_b64 s[6:7], s[6:7], s[0:1]
	v_cmp_le_i32_e64 s[0:1], s33, v30
	v_cmp_gt_i32_e64 s[2:3], s22, v30
	s_and_b64 s[0:1], s[0:1], s[2:3]
	s_and_b64 s[0:1], s[6:7], s[0:1]
	s_and_b64 s[0:1], vcc, s[0:1]
	v_add_u32_e32 v2, v3, v2
	s_waitcnt vmcnt(2)
	v_cndmask_b32_e64 v10, 0, v10, s[0:1]
	v_cndmask_b32_e64 v9, 0, v9, s[0:1]
	;; [unrolled: 1-line block ×4, first 2 shown]
	ds_write2st64_b32 v4, v5, v6 offset0:4 offset1:6
	ds_write2st64_b32 v4, v7, v8 offset0:8 offset1:10
	;; [unrolled: 1-line block ×3, first 2 shown]
	v_lshrrev_b32_e32 v6, s49, v2
	v_mul_hi_u32 v7, v6, s12
	v_mul_lo_u32 v5, v3, s10
	v_or_b32_e32 v1, 20, v1
	v_cmp_gt_i32_e64 s[2:3], s37, v22
	v_add_u32_e32 v7, v6, v7
	v_sub_u32_e32 v2, v32, v5
	v_mul_lo_u32 v5, v6, s9
	v_lshrrev_b32_e32 v7, s48, v7
	v_mul_lo_u32 v8, v7, s8
	v_sub_u32_e32 v9, v2, v26
	v_sub_u32_e32 v3, v3, v5
	v_sub_u32_e32 v10, v3, v28
	v_sub_u32_e32 v5, v6, v8
	v_sub_u32_e32 v6, v7, v27
	v_mul_lo_u32 v26, v6, s34
	v_mul_lo_u32 v27, v10, s78
	v_sub_u32_e32 v6, v5, v29
	v_mul_lo_u32 v28, v6, s76
	v_mul_lo_u32 v29, s39, v1
	;; [unrolled: 1-line block ×6, first 2 shown]
	v_mul_hi_u32 v10, v29, s14
	v_cmp_gt_i32_e64 s[0:1], s51, v33
	s_and_b64 s[2:3], s[2:3], s[0:1]
	s_waitcnt vmcnt(1)
	v_cndmask_b32_e64 v12, 0, v12, s[2:3]
	v_cndmask_b32_e64 v11, 0, v11, s[2:3]
	v_add3_u32 v1, v8, v1, v6
	v_cndmask_b32_e64 v14, 0, v14, s[2:3]
	v_cndmask_b32_e64 v13, 0, v13, s[2:3]
	ds_write2st64_b32 v4, v11, v12 offset0:64 offset1:66
	ds_write2st64_b32 v4, v13, v14 offset0:68 offset1:70
	v_add3_u32 v12, v1, v9, v34
	v_add_u32_e32 v1, v29, v10
	v_lshrrev_b32_e32 v13, s50, v1
	v_mul_hi_u32 v1, v13, s13
	v_add_u32_e32 v25, s18, v22
	v_cmp_gt_i32_e64 s[2:3], s37, v25
	s_and_b64 s[2:3], s[2:3], s[0:1]
	v_add_u32_e32 v1, v13, v1
	s_waitcnt vmcnt(0)
	v_cndmask_b32_e64 v18, 0, v18, s[2:3]
	v_cndmask_b32_e64 v17, 0, v17, s[2:3]
	;; [unrolled: 1-line block ×4, first 2 shown]
	v_lshlrev_b32_e32 v6, 1, v12
	v_lshrrev_b32_e32 v14, s49, v1
	ds_write2st64_b32 v4, v15, v16 offset0:72 offset1:74
	ds_write2st64_b32 v4, v17, v18 offset0:76 offset1:78
	s_waitcnt lgkmcnt(0)
	s_barrier
	buffer_load_dwordx4 v[8:11], v6, s[28:31], 0 offen
	v_mul_hi_u32 v6, v14, s12
	v_mad_u64_u32 v[1:2], s[2:3], v13, s10, v[2:3]
	v_mad_u64_u32 v[2:3], s[2:3], v14, s9, v[3:4]
	v_add_u32_e32 v3, v14, v6
	v_lshrrev_b32_e32 v3, s48, v3
	v_mad_u64_u32 v[5:6], s[2:3], v3, s8, v[5:6]
	v_sub_u32_e32 v1, v29, v1
	v_sub_u32_e32 v2, v13, v2
	;; [unrolled: 1-line block ×4, first 2 shown]
	v_mul_lo_u32 v3, v3, s34
	v_mul_lo_u32 v33, v5, s76
	;; [unrolled: 1-line block ×6, first 2 shown]
	v_add_u32_e32 v26, v30, v26
	v_mad_u64_u32 v[1:2], s[2:3], v34, s47, v[1:2]
	v_cmp_gt_i32_e64 s[2:3], s25, v32
	v_add_u32_e32 v3, v26, v3
	v_add3_u32 v1, v1, v5, v6
	v_add_lshl_u32 v1, v1, v12, 1
	buffer_load_dwordx4 v[12:15], v1, s[28:31], 0 offen
	v_add_u32_e32 v1, s38, v35
	v_lshlrev_b32_e32 v2, 1, v1
	buffer_load_dwordx4 v[16:19], v2, s[40:43], 0 offen
	v_add_lshl_u32 v1, v1, s18, 1
	buffer_load_dwordx4 v[20:23], v1, s[40:43], 0 offen
	v_lshrrev_b32_e32 v1, 5, v0
	v_lshlrev_b32_e32 v5, 1, v0
	v_lshlrev_b32_e32 v2, 6, v1
	v_and_b32_e32 v6, 0x1f8, v5
	v_sub_u32_e32 v2, v6, v2
	v_lshlrev_b32_e32 v0, 2, v0
	v_and_or_b32 v0, v0, 4, v2
	v_add_u32_e32 v2, v24, v27
	v_cmp_gt_i32_e64 s[6:7], s20, v2
	s_load_dword s14, s[4:5], 0x1e8
	s_load_dword s17, s[4:5], 0x210
	s_load_dwordx2 s[8:9], s[4:5], 0x220
	s_load_dword s10, s[4:5], 0x22c
	s_load_dword s12, s[4:5], 0x238
	;; [unrolled: 1-line block ×3, first 2 shown]
	v_add_u32_e32 v24, v31, v28
	v_cmp_le_i32_e64 s[4:5], s55, v2
	s_and_b64 s[2:3], s[6:7], s[2:3]
	s_and_b64 s[6:7], s[2:3], s[4:5]
	v_cmp_le_i32_e64 s[2:3], s53, v24
	v_cmp_gt_i32_e64 s[4:5], s21, v24
	s_and_b64 s[2:3], s[2:3], s[4:5]
	s_and_b64 s[6:7], s[6:7], s[2:3]
	v_cmp_le_i32_e64 s[2:3], s33, v26
	v_cmp_gt_i32_e64 s[4:5], s22, v26
	s_and_b64 s[2:3], s[2:3], s[4:5]
	s_and_b64 s[2:3], s[6:7], s[2:3]
	v_lshlrev_b32_e32 v1, 3, v1
	s_and_b64 s[2:3], vcc, s[2:3]
	v_add_u32_e32 v2, v2, v34
	v_and_or_b32 v1, v5, 4, v1
	v_cmp_gt_i32_e64 s[6:7], s20, v2
	v_cmp_le_i32_e64 s[4:5], s55, v2
	v_add_u32_e32 v25, s38, v25
	v_add_u32_e32 v2, s18, v25
	s_waitcnt lgkmcnt(0)
	s_lshl_b32 s38, s17, 1
	s_mov_b32 s39, s31
	s_waitcnt vmcnt(3)
	v_cndmask_b32_e64 v5, 0, v11, s[2:3]
	v_cndmask_b32_e64 v6, 0, v10, s[2:3]
	;; [unrolled: 1-line block ×4, first 2 shown]
	v_cmp_gt_i32_e64 s[2:3], s25, v29
	v_add_u32_e32 v9, v24, v33
	s_and_b64 s[2:3], s[6:7], s[2:3]
	s_and_b64 s[6:7], s[2:3], s[4:5]
	v_cmp_le_i32_e64 s[2:3], s53, v9
	v_cmp_gt_i32_e64 s[4:5], s21, v9
	s_and_b64 s[2:3], s[2:3], s[4:5]
	s_and_b64 s[6:7], s[6:7], s[2:3]
	v_cmp_le_i32_e64 s[2:3], s33, v3
	v_cmp_gt_i32_e64 s[4:5], s22, v3
	s_and_b64 s[2:3], s[2:3], s[4:5]
	s_and_b64 s[2:3], s[6:7], s[2:3]
	s_and_b64 vcc, vcc, s[2:3]
	v_lshlrev_b32_e32 v3, 2, v0
	ds_read_b128 v[26:29], v3 offset:16384
	s_lshl_b32 s6, s27, 6
	s_and_b32 s25, s11, 0xffff
	s_waitcnt vmcnt(2)
	v_cndmask_b32_e32 v9, 0, v15, vcc
	v_cndmask_b32_e32 v10, 0, v14, vcc
	;; [unrolled: 1-line block ×4, first 2 shown]
	v_cmp_gt_i32_e32 vcc, s37, v25
	s_and_b64 vcc, vcc, s[0:1]
	s_waitcnt vmcnt(1)
	v_cndmask_b32_e32 v13, 0, v19, vcc
	v_cndmask_b32_e32 v14, 0, v18, vcc
	;; [unrolled: 1-line block ×4, first 2 shown]
	v_cmp_gt_i32_e32 vcc, s37, v2
	s_and_b64 vcc, vcc, s[0:1]
	v_lshlrev_b32_e32 v2, 2, v1
	s_waitcnt vmcnt(0)
	v_cndmask_b32_e32 v17, 0, v23, vcc
	v_cndmask_b32_e32 v18, 0, v22, vcc
	ds_read_b128 v[22:25], v2
	ds_read_b128 v[30:33], v3 offset:16640
	ds_read_b128 v[34:37], v2 offset:256
	v_cndmask_b32_e32 v19, 0, v21, vcc
	v_cndmask_b32_e32 v20, 0, v20, vcc
	s_and_b32 s37, s19, 0xffff
	s_waitcnt lgkmcnt(2)
	v_dot2_f32_f16 v38, v22, v26, 0
	v_dot2_f32_f16 v39, v22, v27, 0
	;; [unrolled: 1-line block ×16, first 2 shown]
	s_waitcnt lgkmcnt(1)
	v_dot2_f32_f16 v54, v22, v30, 0
	v_dot2_f32_f16 v55, v22, v31, 0
	;; [unrolled: 1-line block ×16, first 2 shown]
	ds_read_b128 v[21:24], v2 offset:512
	s_waitcnt lgkmcnt(1)
	v_dot2_f32_f16 v70, v34, v26, 0
	v_dot2_f32_f16 v71, v34, v27, 0
	;; [unrolled: 1-line block ×16, first 2 shown]
	ds_read_b128 v[25:28], v3 offset:16896
	v_dot2_f32_f16 v86, v34, v30, 0
	v_dot2_f32_f16 v87, v34, v31, 0
	;; [unrolled: 1-line block ×16, first 2 shown]
	ds_read_b128 v[29:32], v3 offset:17152
	ds_read_b128 v[33:36], v2 offset:768
	s_waitcnt lgkmcnt(2)
	v_dot2_f32_f16 v38, v21, v25, v38
	v_dot2_f32_f16 v39, v21, v26, v39
	;; [unrolled: 1-line block ×16, first 2 shown]
	s_waitcnt lgkmcnt(1)
	v_dot2_f32_f16 v54, v21, v29, v54
	v_dot2_f32_f16 v55, v21, v30, v55
	v_dot2_f32_f16 v56, v21, v31, v56
	v_dot2_f32_f16 v57, v21, v32, v57
	v_dot2_f32_f16 v58, v22, v29, v58
	v_dot2_f32_f16 v59, v22, v30, v59
	v_dot2_f32_f16 v60, v22, v31, v60
	v_dot2_f32_f16 v61, v22, v32, v61
	v_dot2_f32_f16 v62, v23, v29, v62
	v_dot2_f32_f16 v63, v23, v30, v63
	v_dot2_f32_f16 v64, v23, v31, v64
	v_dot2_f32_f16 v65, v23, v32, v65
	v_dot2_f32_f16 v66, v24, v29, v66
	v_dot2_f32_f16 v67, v24, v30, v67
	v_dot2_f32_f16 v68, v24, v31, v68
	v_dot2_f32_f16 v69, v24, v32, v69
	ds_read_b128 v[21:24], v2 offset:1024
	s_waitcnt lgkmcnt(1)
	v_dot2_f32_f16 v70, v33, v25, v70
	v_dot2_f32_f16 v71, v33, v26, v71
	;; [unrolled: 1-line block ×16, first 2 shown]
	ds_read_b128 v[25:28], v3 offset:17408
	v_dot2_f32_f16 v86, v33, v29, v86
	v_dot2_f32_f16 v87, v33, v30, v87
	;; [unrolled: 1-line block ×16, first 2 shown]
	ds_read_b128 v[29:32], v3 offset:17664
	ds_read_b128 v[33:36], v2 offset:1280
	s_waitcnt lgkmcnt(2)
	v_dot2_f32_f16 v38, v21, v25, v38
	v_dot2_f32_f16 v39, v21, v26, v39
	;; [unrolled: 1-line block ×16, first 2 shown]
	s_waitcnt lgkmcnt(1)
	v_dot2_f32_f16 v54, v21, v29, v54
	v_dot2_f32_f16 v55, v21, v30, v55
	;; [unrolled: 1-line block ×16, first 2 shown]
	ds_read_b128 v[21:24], v2 offset:1536
	s_waitcnt lgkmcnt(1)
	v_dot2_f32_f16 v70, v33, v25, v70
	v_dot2_f32_f16 v71, v33, v26, v71
	;; [unrolled: 1-line block ×16, first 2 shown]
	ds_read_b128 v[25:28], v3 offset:17920
	v_dot2_f32_f16 v86, v33, v29, v86
	v_dot2_f32_f16 v87, v33, v30, v87
	;; [unrolled: 1-line block ×16, first 2 shown]
	ds_read_b128 v[29:32], v3 offset:18176
	ds_read_b128 v[33:36], v2 offset:1792
	s_waitcnt lgkmcnt(2)
	v_dot2_f32_f16 v38, v21, v25, v38
	v_dot2_f32_f16 v39, v21, v26, v39
	;; [unrolled: 1-line block ×16, first 2 shown]
	s_waitcnt lgkmcnt(1)
	v_dot2_f32_f16 v54, v21, v29, v54
	v_dot2_f32_f16 v55, v21, v30, v55
	;; [unrolled: 1-line block ×16, first 2 shown]
	ds_read_b128 v[21:24], v2 offset:2048
	s_waitcnt lgkmcnt(1)
	v_dot2_f32_f16 v70, v33, v25, v70
	v_dot2_f32_f16 v71, v33, v26, v71
	;; [unrolled: 1-line block ×16, first 2 shown]
	ds_read_b128 v[25:28], v3 offset:18432
	v_dot2_f32_f16 v86, v33, v29, v86
	v_dot2_f32_f16 v87, v33, v30, v87
	;; [unrolled: 1-line block ×16, first 2 shown]
	ds_read_b128 v[29:32], v3 offset:18688
	ds_read_b128 v[33:36], v2 offset:2304
	s_waitcnt lgkmcnt(2)
	v_dot2_f32_f16 v38, v21, v25, v38
	v_dot2_f32_f16 v39, v21, v26, v39
	;; [unrolled: 1-line block ×16, first 2 shown]
	s_waitcnt lgkmcnt(1)
	v_dot2_f32_f16 v54, v21, v29, v54
	v_dot2_f32_f16 v55, v21, v30, v55
	;; [unrolled: 1-line block ×16, first 2 shown]
	ds_read_b128 v[21:24], v2 offset:2560
	s_waitcnt lgkmcnt(1)
	v_dot2_f32_f16 v70, v33, v25, v70
	v_dot2_f32_f16 v71, v33, v26, v71
	;; [unrolled: 1-line block ×16, first 2 shown]
	ds_read_b128 v[25:28], v3 offset:18944
	v_dot2_f32_f16 v86, v33, v29, v86
	v_dot2_f32_f16 v87, v33, v30, v87
	;; [unrolled: 1-line block ×16, first 2 shown]
	ds_read_b128 v[29:32], v3 offset:19200
	ds_read_b128 v[33:36], v2 offset:2816
	s_waitcnt lgkmcnt(2)
	v_dot2_f32_f16 v38, v21, v25, v38
	v_dot2_f32_f16 v39, v21, v26, v39
	v_dot2_f32_f16 v40, v21, v27, v40
	v_dot2_f32_f16 v41, v21, v28, v41
	v_dot2_f32_f16 v42, v22, v25, v42
	v_dot2_f32_f16 v43, v22, v26, v43
	v_dot2_f32_f16 v44, v22, v27, v44
	v_dot2_f32_f16 v45, v22, v28, v45
	v_dot2_f32_f16 v46, v23, v25, v46
	v_dot2_f32_f16 v47, v23, v26, v47
	v_dot2_f32_f16 v48, v23, v27, v48
	v_dot2_f32_f16 v49, v23, v28, v49
	v_dot2_f32_f16 v50, v24, v25, v50
	v_dot2_f32_f16 v51, v24, v26, v51
	v_dot2_f32_f16 v52, v24, v27, v52
	v_dot2_f32_f16 v53, v24, v28, v53
	s_waitcnt lgkmcnt(1)
	v_dot2_f32_f16 v54, v21, v29, v54
	v_dot2_f32_f16 v55, v21, v30, v55
	;; [unrolled: 1-line block ×16, first 2 shown]
	ds_read_b128 v[21:24], v2 offset:3072
	s_waitcnt lgkmcnt(1)
	v_dot2_f32_f16 v70, v33, v25, v70
	v_dot2_f32_f16 v71, v33, v26, v71
	;; [unrolled: 1-line block ×16, first 2 shown]
	ds_read_b128 v[25:28], v3 offset:19456
	v_dot2_f32_f16 v86, v33, v29, v86
	v_dot2_f32_f16 v87, v33, v30, v87
	;; [unrolled: 1-line block ×16, first 2 shown]
	ds_read_b128 v[29:32], v3 offset:19712
	ds_read_b128 v[33:36], v2 offset:3328
	s_waitcnt lgkmcnt(2)
	v_dot2_f32_f16 v38, v21, v25, v38
	v_dot2_f32_f16 v39, v21, v26, v39
	;; [unrolled: 1-line block ×16, first 2 shown]
	s_waitcnt lgkmcnt(1)
	v_dot2_f32_f16 v54, v21, v29, v54
	v_dot2_f32_f16 v55, v21, v30, v55
	;; [unrolled: 1-line block ×16, first 2 shown]
	ds_read_b128 v[21:24], v2 offset:3584
	s_waitcnt lgkmcnt(1)
	v_dot2_f32_f16 v70, v33, v25, v70
	v_dot2_f32_f16 v71, v33, v26, v71
	;; [unrolled: 1-line block ×16, first 2 shown]
	ds_read_b128 v[25:28], v3 offset:19968
	v_dot2_f32_f16 v86, v33, v29, v86
	v_dot2_f32_f16 v87, v33, v30, v87
	;; [unrolled: 1-line block ×16, first 2 shown]
	ds_read_b128 v[29:32], v3 offset:20224
	ds_read_b128 v[33:36], v2 offset:3840
	s_waitcnt lgkmcnt(2)
	v_dot2_f32_f16 v38, v21, v25, v38
	v_dot2_f32_f16 v39, v21, v26, v39
	;; [unrolled: 1-line block ×16, first 2 shown]
	s_waitcnt lgkmcnt(1)
	v_dot2_f32_f16 v54, v21, v29, v54
	v_dot2_f32_f16 v55, v21, v30, v55
	;; [unrolled: 1-line block ×16, first 2 shown]
	ds_read_b128 v[21:24], v2 offset:4096
	s_waitcnt lgkmcnt(1)
	v_dot2_f32_f16 v70, v33, v25, v70
	v_dot2_f32_f16 v71, v33, v26, v71
	;; [unrolled: 1-line block ×16, first 2 shown]
	ds_read_b128 v[25:28], v3 offset:20480
	v_dot2_f32_f16 v86, v33, v29, v86
	v_dot2_f32_f16 v87, v33, v30, v87
	v_dot2_f32_f16 v88, v33, v31, v88
	v_dot2_f32_f16 v89, v33, v32, v89
	v_dot2_f32_f16 v90, v34, v29, v90
	v_dot2_f32_f16 v91, v34, v30, v91
	v_dot2_f32_f16 v92, v34, v31, v92
	v_dot2_f32_f16 v93, v34, v32, v93
	v_dot2_f32_f16 v94, v35, v29, v94
	v_dot2_f32_f16 v95, v35, v30, v95
	v_dot2_f32_f16 v96, v35, v31, v96
	v_dot2_f32_f16 v97, v35, v32, v97
	v_dot2_f32_f16 v98, v36, v29, v98
	v_dot2_f32_f16 v99, v36, v30, v99
	v_dot2_f32_f16 v100, v36, v31, v100
	v_dot2_f32_f16 v37, v36, v32, v37
	ds_read_b128 v[29:32], v3 offset:20736
	ds_read_b128 v[33:36], v2 offset:4352
	s_waitcnt lgkmcnt(2)
	v_dot2_f32_f16 v38, v21, v25, v38
	v_dot2_f32_f16 v39, v21, v26, v39
	v_dot2_f32_f16 v40, v21, v27, v40
	v_dot2_f32_f16 v41, v21, v28, v41
	v_dot2_f32_f16 v42, v22, v25, v42
	v_dot2_f32_f16 v43, v22, v26, v43
	v_dot2_f32_f16 v44, v22, v27, v44
	v_dot2_f32_f16 v45, v22, v28, v45
	v_dot2_f32_f16 v46, v23, v25, v46
	v_dot2_f32_f16 v47, v23, v26, v47
	v_dot2_f32_f16 v48, v23, v27, v48
	v_dot2_f32_f16 v49, v23, v28, v49
	v_dot2_f32_f16 v50, v24, v25, v50
	v_dot2_f32_f16 v51, v24, v26, v51
	v_dot2_f32_f16 v52, v24, v27, v52
	v_dot2_f32_f16 v53, v24, v28, v53
	s_waitcnt lgkmcnt(1)
	v_dot2_f32_f16 v54, v21, v29, v54
	v_dot2_f32_f16 v55, v21, v30, v55
	;; [unrolled: 1-line block ×16, first 2 shown]
	ds_read_b128 v[21:24], v2 offset:4608
	s_waitcnt lgkmcnt(1)
	v_dot2_f32_f16 v70, v33, v25, v70
	v_dot2_f32_f16 v71, v33, v26, v71
	;; [unrolled: 1-line block ×16, first 2 shown]
	ds_read_b128 v[25:28], v3 offset:20992
	v_dot2_f32_f16 v86, v33, v29, v86
	v_dot2_f32_f16 v87, v33, v30, v87
	;; [unrolled: 1-line block ×16, first 2 shown]
	ds_read_b128 v[29:32], v3 offset:21248
	ds_read_b128 v[33:36], v2 offset:4864
	s_waitcnt lgkmcnt(2)
	v_dot2_f32_f16 v38, v21, v25, v38
	v_dot2_f32_f16 v39, v21, v26, v39
	;; [unrolled: 1-line block ×16, first 2 shown]
	s_waitcnt lgkmcnt(1)
	v_dot2_f32_f16 v54, v21, v29, v54
	v_dot2_f32_f16 v55, v21, v30, v55
	v_dot2_f32_f16 v56, v21, v31, v56
	v_dot2_f32_f16 v57, v21, v32, v57
	v_dot2_f32_f16 v58, v22, v29, v58
	v_dot2_f32_f16 v59, v22, v30, v59
	v_dot2_f32_f16 v60, v22, v31, v60
	v_dot2_f32_f16 v61, v22, v32, v61
	v_dot2_f32_f16 v62, v23, v29, v62
	v_dot2_f32_f16 v63, v23, v30, v63
	v_dot2_f32_f16 v64, v23, v31, v64
	v_dot2_f32_f16 v65, v23, v32, v65
	v_dot2_f32_f16 v66, v24, v29, v66
	v_dot2_f32_f16 v67, v24, v30, v67
	v_dot2_f32_f16 v68, v24, v31, v68
	v_dot2_f32_f16 v69, v24, v32, v69
	ds_read_b128 v[21:24], v2 offset:5120
	s_waitcnt lgkmcnt(1)
	v_dot2_f32_f16 v70, v33, v25, v70
	v_dot2_f32_f16 v71, v33, v26, v71
	;; [unrolled: 1-line block ×16, first 2 shown]
	ds_read_b128 v[25:28], v3 offset:21504
	v_dot2_f32_f16 v86, v33, v29, v86
	v_dot2_f32_f16 v87, v33, v30, v87
	;; [unrolled: 1-line block ×16, first 2 shown]
	ds_read_b128 v[29:32], v3 offset:21760
	ds_read_b128 v[33:36], v2 offset:5376
	s_waitcnt lgkmcnt(2)
	v_dot2_f32_f16 v38, v21, v25, v38
	v_dot2_f32_f16 v39, v21, v26, v39
	;; [unrolled: 1-line block ×16, first 2 shown]
	s_waitcnt lgkmcnt(1)
	v_dot2_f32_f16 v54, v21, v29, v54
	v_dot2_f32_f16 v55, v21, v30, v55
	;; [unrolled: 1-line block ×16, first 2 shown]
	ds_read_b128 v[21:24], v2 offset:5632
	s_waitcnt lgkmcnt(1)
	v_dot2_f32_f16 v70, v33, v25, v70
	v_dot2_f32_f16 v71, v33, v26, v71
	;; [unrolled: 1-line block ×16, first 2 shown]
	ds_read_b128 v[25:28], v3 offset:22016
	v_dot2_f32_f16 v86, v33, v29, v86
	v_dot2_f32_f16 v87, v33, v30, v87
	;; [unrolled: 1-line block ×16, first 2 shown]
	ds_read_b128 v[29:32], v3 offset:22272
	ds_read_b128 v[33:36], v2 offset:5888
	s_waitcnt lgkmcnt(2)
	v_dot2_f32_f16 v38, v21, v25, v38
	v_dot2_f32_f16 v39, v21, v26, v39
	;; [unrolled: 1-line block ×16, first 2 shown]
	s_waitcnt lgkmcnt(1)
	v_dot2_f32_f16 v54, v21, v29, v54
	v_dot2_f32_f16 v55, v21, v30, v55
	;; [unrolled: 1-line block ×16, first 2 shown]
	ds_read_b128 v[21:24], v2 offset:6144
	s_waitcnt lgkmcnt(1)
	v_dot2_f32_f16 v70, v33, v25, v70
	v_dot2_f32_f16 v71, v33, v26, v71
	;; [unrolled: 1-line block ×16, first 2 shown]
	ds_read_b128 v[25:28], v3 offset:22528
	v_dot2_f32_f16 v86, v33, v29, v86
	v_dot2_f32_f16 v87, v33, v30, v87
	;; [unrolled: 1-line block ×16, first 2 shown]
	ds_read_b128 v[29:32], v3 offset:22784
	ds_read_b128 v[33:36], v2 offset:6400
	s_waitcnt lgkmcnt(2)
	v_dot2_f32_f16 v38, v21, v25, v38
	v_dot2_f32_f16 v39, v21, v26, v39
	;; [unrolled: 1-line block ×16, first 2 shown]
	s_waitcnt lgkmcnt(1)
	v_dot2_f32_f16 v54, v21, v29, v54
	v_dot2_f32_f16 v55, v21, v30, v55
	;; [unrolled: 1-line block ×16, first 2 shown]
	ds_read_b128 v[21:24], v2 offset:6656
	s_waitcnt lgkmcnt(1)
	v_dot2_f32_f16 v70, v33, v25, v70
	v_dot2_f32_f16 v71, v33, v26, v71
	;; [unrolled: 1-line block ×16, first 2 shown]
	ds_read_b128 v[25:28], v3 offset:23040
	v_dot2_f32_f16 v86, v33, v29, v86
	v_dot2_f32_f16 v87, v33, v30, v87
	;; [unrolled: 1-line block ×16, first 2 shown]
	ds_read_b128 v[29:32], v3 offset:23296
	ds_read_b128 v[33:36], v2 offset:6912
	s_waitcnt lgkmcnt(2)
	v_dot2_f32_f16 v38, v21, v25, v38
	v_dot2_f32_f16 v39, v21, v26, v39
	;; [unrolled: 1-line block ×16, first 2 shown]
	s_waitcnt lgkmcnt(1)
	v_dot2_f32_f16 v54, v21, v29, v54
	v_dot2_f32_f16 v55, v21, v30, v55
	;; [unrolled: 1-line block ×16, first 2 shown]
	ds_read_b128 v[21:24], v2 offset:7168
	s_waitcnt lgkmcnt(1)
	v_dot2_f32_f16 v70, v33, v25, v70
	v_dot2_f32_f16 v71, v33, v26, v71
	;; [unrolled: 1-line block ×16, first 2 shown]
	ds_read_b128 v[25:28], v3 offset:23552
	v_dot2_f32_f16 v86, v33, v29, v86
	v_dot2_f32_f16 v87, v33, v30, v87
	v_dot2_f32_f16 v88, v33, v31, v88
	v_dot2_f32_f16 v89, v33, v32, v89
	v_dot2_f32_f16 v90, v34, v29, v90
	v_dot2_f32_f16 v91, v34, v30, v91
	v_dot2_f32_f16 v92, v34, v31, v92
	v_dot2_f32_f16 v93, v34, v32, v93
	v_dot2_f32_f16 v94, v35, v29, v94
	v_dot2_f32_f16 v95, v35, v30, v95
	v_dot2_f32_f16 v96, v35, v31, v96
	v_dot2_f32_f16 v97, v35, v32, v97
	v_dot2_f32_f16 v98, v36, v29, v98
	v_dot2_f32_f16 v99, v36, v30, v99
	v_dot2_f32_f16 v100, v36, v31, v100
	v_dot2_f32_f16 v37, v36, v32, v37
	ds_read_b128 v[29:32], v3 offset:23808
	ds_read_b128 v[33:36], v2 offset:7424
	s_waitcnt lgkmcnt(2)
	v_dot2_f32_f16 v38, v21, v25, v38
	v_dot2_f32_f16 v39, v21, v26, v39
	;; [unrolled: 1-line block ×16, first 2 shown]
	s_waitcnt lgkmcnt(1)
	v_dot2_f32_f16 v54, v21, v29, v54
	v_dot2_f32_f16 v55, v21, v30, v55
	;; [unrolled: 1-line block ×16, first 2 shown]
	ds_read_b128 v[21:24], v2 offset:7680
	s_waitcnt lgkmcnt(1)
	v_dot2_f32_f16 v70, v33, v25, v70
	v_dot2_f32_f16 v71, v33, v26, v71
	;; [unrolled: 1-line block ×16, first 2 shown]
	ds_read_b128 v[25:28], v3 offset:24064
	v_dot2_f32_f16 v86, v33, v29, v86
	v_dot2_f32_f16 v87, v33, v30, v87
	;; [unrolled: 1-line block ×16, first 2 shown]
	ds_read_b128 v[29:32], v3 offset:24320
	ds_read_b128 v[33:36], v2 offset:7936
	ds_write2st64_b32 v4, v8, v7 offset0:32 offset1:34
	ds_write2st64_b32 v4, v6, v5 offset0:36 offset1:38
	;; [unrolled: 1-line block ×8, first 2 shown]
	s_waitcnt lgkmcnt(0)
	s_barrier
	ds_read_b128 v[4:7], v2 offset:8192
	ds_read_b128 v[8:11], v3 offset:24576
	;; [unrolled: 1-line block ×4, first 2 shown]
	v_dot2_f32_f16 v38, v21, v25, v38
	v_dot2_f32_f16 v39, v21, v26, v39
	v_dot2_f32_f16 v40, v21, v27, v40
	v_dot2_f32_f16 v41, v21, v28, v41
	v_dot2_f32_f16 v42, v22, v25, v42
	v_dot2_f32_f16 v43, v22, v26, v43
	v_dot2_f32_f16 v44, v22, v27, v44
	v_dot2_f32_f16 v45, v22, v28, v45
	v_dot2_f32_f16 v46, v23, v25, v46
	v_dot2_f32_f16 v47, v23, v26, v47
	v_dot2_f32_f16 v48, v23, v27, v48
	v_dot2_f32_f16 v49, v23, v28, v49
	v_dot2_f32_f16 v50, v24, v25, v50
	v_dot2_f32_f16 v51, v24, v26, v51
	v_dot2_f32_f16 v52, v24, v27, v52
	v_dot2_f32_f16 v53, v24, v28, v53
	v_dot2_f32_f16 v54, v21, v29, v54
	v_dot2_f32_f16 v55, v21, v30, v55
	v_dot2_f32_f16 v56, v21, v31, v56
	v_dot2_f32_f16 v21, v21, v32, v57
	v_dot2_f32_f16 v57, v22, v29, v58
	v_dot2_f32_f16 v58, v22, v30, v59
	v_dot2_f32_f16 v59, v22, v31, v60
	v_dot2_f32_f16 v22, v22, v32, v61
	v_dot2_f32_f16 v60, v23, v29, v62
	v_dot2_f32_f16 v61, v23, v30, v63
	v_dot2_f32_f16 v62, v23, v31, v64
	v_dot2_f32_f16 v23, v23, v32, v65
	v_dot2_f32_f16 v63, v24, v29, v66
	v_dot2_f32_f16 v64, v24, v30, v67
	v_dot2_f32_f16 v65, v24, v31, v68
	v_dot2_f32_f16 v24, v24, v32, v69
	v_dot2_f32_f16 v66, v33, v25, v70
	v_dot2_f32_f16 v67, v33, v26, v71
	v_dot2_f32_f16 v68, v33, v27, v72
	v_dot2_f32_f16 v69, v33, v28, v73
	v_dot2_f32_f16 v70, v34, v25, v74
	v_dot2_f32_f16 v71, v34, v26, v75
	v_dot2_f32_f16 v72, v34, v27, v76
	v_dot2_f32_f16 v73, v34, v28, v77
	v_dot2_f32_f16 v74, v35, v25, v78
	v_dot2_f32_f16 v75, v35, v26, v79
	v_dot2_f32_f16 v76, v35, v27, v80
	v_dot2_f32_f16 v77, v35, v28, v81
	v_dot2_f32_f16 v25, v36, v25, v82
	v_dot2_f32_f16 v26, v36, v26, v83
	v_dot2_f32_f16 v27, v36, v27, v84
	v_dot2_f32_f16 v28, v36, v28, v85
	v_dot2_f32_f16 v78, v33, v29, v86
	v_dot2_f32_f16 v79, v33, v30, v87
	v_dot2_f32_f16 v80, v33, v31, v88
	v_dot2_f32_f16 v33, v33, v32, v89
	v_dot2_f32_f16 v81, v34, v29, v90
	v_dot2_f32_f16 v82, v34, v30, v91
	v_dot2_f32_f16 v83, v34, v31, v92
	v_dot2_f32_f16 v34, v34, v32, v93
	v_dot2_f32_f16 v84, v35, v29, v94
	v_dot2_f32_f16 v85, v35, v30, v95
	v_dot2_f32_f16 v86, v35, v31, v96
	v_dot2_f32_f16 v35, v35, v32, v97
	v_dot2_f32_f16 v29, v36, v29, v98
	v_dot2_f32_f16 v30, v36, v30, v99
	v_dot2_f32_f16 v20, v36, v31, v100
	v_dot2_f32_f16 v31, v36, v32, v37
	s_waitcnt lgkmcnt(2)
	v_dot2_f32_f16 v32, v4, v8, v38
	v_dot2_f32_f16 v36, v4, v9, v39
	;; [unrolled: 1-line block ×16, first 2 shown]
	s_waitcnt lgkmcnt(1)
	v_dot2_f32_f16 v51, v4, v12, v54
	v_dot2_f32_f16 v52, v4, v13, v55
	;; [unrolled: 1-line block ×16, first 2 shown]
	ds_read_b128 v[4:7], v2 offset:8704
	s_waitcnt lgkmcnt(1)
	v_dot2_f32_f16 v63, v16, v8, v66
	v_dot2_f32_f16 v64, v16, v9, v67
	;; [unrolled: 1-line block ×16, first 2 shown]
	ds_read_b128 v[8:11], v3 offset:25088
	v_dot2_f32_f16 v75, v16, v12, v78
	v_dot2_f32_f16 v76, v16, v13, v79
	;; [unrolled: 1-line block ×16, first 2 shown]
	ds_read_b128 v[12:15], v3 offset:25344
	ds_read_b128 v[16:19], v2 offset:8960
	s_waitcnt lgkmcnt(2)
	v_dot2_f32_f16 v32, v4, v8, v32
	v_dot2_f32_f16 v36, v4, v9, v36
	;; [unrolled: 1-line block ×16, first 2 shown]
	s_waitcnt lgkmcnt(1)
	v_dot2_f32_f16 v51, v4, v12, v51
	v_dot2_f32_f16 v52, v4, v13, v52
	;; [unrolled: 1-line block ×16, first 2 shown]
	ds_read_b128 v[4:7], v2 offset:9216
	s_waitcnt lgkmcnt(1)
	v_dot2_f32_f16 v63, v16, v8, v63
	v_dot2_f32_f16 v64, v16, v9, v64
	;; [unrolled: 1-line block ×16, first 2 shown]
	ds_read_b128 v[8:11], v3 offset:25600
	v_dot2_f32_f16 v75, v16, v12, v75
	v_dot2_f32_f16 v76, v16, v13, v76
	;; [unrolled: 1-line block ×16, first 2 shown]
	ds_read_b128 v[12:15], v3 offset:25856
	ds_read_b128 v[16:19], v2 offset:9472
	s_waitcnt lgkmcnt(2)
	v_dot2_f32_f16 v32, v4, v8, v32
	v_dot2_f32_f16 v36, v4, v9, v36
	;; [unrolled: 1-line block ×16, first 2 shown]
	s_waitcnt lgkmcnt(1)
	v_dot2_f32_f16 v51, v4, v12, v51
	v_dot2_f32_f16 v52, v4, v13, v52
	;; [unrolled: 1-line block ×16, first 2 shown]
	ds_read_b128 v[4:7], v2 offset:9728
	s_waitcnt lgkmcnt(1)
	v_dot2_f32_f16 v63, v16, v8, v63
	v_dot2_f32_f16 v64, v16, v9, v64
	;; [unrolled: 1-line block ×16, first 2 shown]
	ds_read_b128 v[8:11], v3 offset:26112
	v_dot2_f32_f16 v75, v16, v12, v75
	v_dot2_f32_f16 v76, v16, v13, v76
	;; [unrolled: 1-line block ×16, first 2 shown]
	ds_read_b128 v[12:15], v3 offset:26368
	ds_read_b128 v[16:19], v2 offset:9984
	s_waitcnt lgkmcnt(2)
	v_dot2_f32_f16 v32, v4, v8, v32
	v_dot2_f32_f16 v36, v4, v9, v36
	;; [unrolled: 1-line block ×16, first 2 shown]
	s_waitcnt lgkmcnt(1)
	v_dot2_f32_f16 v51, v4, v12, v51
	v_dot2_f32_f16 v52, v4, v13, v52
	v_dot2_f32_f16 v53, v4, v14, v53
	v_dot2_f32_f16 v21, v4, v15, v21
	v_dot2_f32_f16 v54, v5, v12, v54
	v_dot2_f32_f16 v55, v5, v13, v55
	v_dot2_f32_f16 v56, v5, v14, v56
	v_dot2_f32_f16 v22, v5, v15, v22
	v_dot2_f32_f16 v57, v6, v12, v57
	v_dot2_f32_f16 v58, v6, v13, v58
	v_dot2_f32_f16 v59, v6, v14, v59
	v_dot2_f32_f16 v23, v6, v15, v23
	v_dot2_f32_f16 v60, v7, v12, v60
	v_dot2_f32_f16 v61, v7, v13, v61
	v_dot2_f32_f16 v62, v7, v14, v62
	v_dot2_f32_f16 v24, v7, v15, v24
	ds_read_b128 v[4:7], v2 offset:10240
	s_waitcnt lgkmcnt(1)
	v_dot2_f32_f16 v63, v16, v8, v63
	v_dot2_f32_f16 v64, v16, v9, v64
	;; [unrolled: 1-line block ×16, first 2 shown]
	ds_read_b128 v[8:11], v3 offset:26624
	v_dot2_f32_f16 v75, v16, v12, v75
	v_dot2_f32_f16 v76, v16, v13, v76
	;; [unrolled: 1-line block ×16, first 2 shown]
	ds_read_b128 v[12:15], v3 offset:26880
	ds_read_b128 v[16:19], v2 offset:10496
	s_waitcnt lgkmcnt(2)
	v_dot2_f32_f16 v32, v4, v8, v32
	v_dot2_f32_f16 v36, v4, v9, v36
	;; [unrolled: 1-line block ×16, first 2 shown]
	s_waitcnt lgkmcnt(1)
	v_dot2_f32_f16 v51, v4, v12, v51
	v_dot2_f32_f16 v52, v4, v13, v52
	;; [unrolled: 1-line block ×16, first 2 shown]
	ds_read_b128 v[4:7], v2 offset:10752
	s_waitcnt lgkmcnt(1)
	v_dot2_f32_f16 v63, v16, v8, v63
	v_dot2_f32_f16 v64, v16, v9, v64
	;; [unrolled: 1-line block ×16, first 2 shown]
	ds_read_b128 v[8:11], v3 offset:27136
	v_dot2_f32_f16 v75, v16, v12, v75
	v_dot2_f32_f16 v76, v16, v13, v76
	;; [unrolled: 1-line block ×16, first 2 shown]
	ds_read_b128 v[12:15], v3 offset:27392
	ds_read_b128 v[16:19], v2 offset:11008
	s_waitcnt lgkmcnt(2)
	v_dot2_f32_f16 v32, v4, v8, v32
	v_dot2_f32_f16 v36, v4, v9, v36
	;; [unrolled: 1-line block ×16, first 2 shown]
	s_waitcnt lgkmcnt(1)
	v_dot2_f32_f16 v51, v4, v12, v51
	v_dot2_f32_f16 v52, v4, v13, v52
	;; [unrolled: 1-line block ×16, first 2 shown]
	ds_read_b128 v[4:7], v2 offset:11264
	s_waitcnt lgkmcnt(1)
	v_dot2_f32_f16 v63, v16, v8, v63
	v_dot2_f32_f16 v64, v16, v9, v64
	v_dot2_f32_f16 v65, v16, v10, v65
	v_dot2_f32_f16 v66, v16, v11, v66
	v_dot2_f32_f16 v67, v17, v8, v67
	v_dot2_f32_f16 v68, v17, v9, v68
	v_dot2_f32_f16 v69, v17, v10, v69
	v_dot2_f32_f16 v70, v17, v11, v70
	v_dot2_f32_f16 v71, v18, v8, v71
	v_dot2_f32_f16 v72, v18, v9, v72
	v_dot2_f32_f16 v73, v18, v10, v73
	v_dot2_f32_f16 v74, v18, v11, v74
	v_dot2_f32_f16 v25, v19, v8, v25
	v_dot2_f32_f16 v26, v19, v9, v26
	v_dot2_f32_f16 v27, v19, v10, v27
	v_dot2_f32_f16 v28, v19, v11, v28
	ds_read_b128 v[8:11], v3 offset:27648
	v_dot2_f32_f16 v75, v16, v12, v75
	v_dot2_f32_f16 v76, v16, v13, v76
	;; [unrolled: 1-line block ×16, first 2 shown]
	ds_read_b128 v[12:15], v3 offset:27904
	ds_read_b128 v[16:19], v2 offset:11520
	s_waitcnt lgkmcnt(2)
	v_dot2_f32_f16 v32, v4, v8, v32
	v_dot2_f32_f16 v36, v4, v9, v36
	;; [unrolled: 1-line block ×16, first 2 shown]
	s_waitcnt lgkmcnt(1)
	v_dot2_f32_f16 v51, v4, v12, v51
	v_dot2_f32_f16 v52, v4, v13, v52
	;; [unrolled: 1-line block ×16, first 2 shown]
	ds_read_b128 v[4:7], v2 offset:11776
	s_waitcnt lgkmcnt(1)
	v_dot2_f32_f16 v63, v16, v8, v63
	v_dot2_f32_f16 v64, v16, v9, v64
	;; [unrolled: 1-line block ×16, first 2 shown]
	ds_read_b128 v[8:11], v3 offset:28160
	v_dot2_f32_f16 v75, v16, v12, v75
	v_dot2_f32_f16 v76, v16, v13, v76
	;; [unrolled: 1-line block ×16, first 2 shown]
	ds_read_b128 v[12:15], v3 offset:28416
	ds_read_b128 v[16:19], v2 offset:12032
	s_waitcnt lgkmcnt(2)
	v_dot2_f32_f16 v32, v4, v8, v32
	v_dot2_f32_f16 v36, v4, v9, v36
	;; [unrolled: 1-line block ×16, first 2 shown]
	s_waitcnt lgkmcnt(1)
	v_dot2_f32_f16 v51, v4, v12, v51
	v_dot2_f32_f16 v52, v4, v13, v52
	;; [unrolled: 1-line block ×16, first 2 shown]
	ds_read_b128 v[4:7], v2 offset:12288
	s_waitcnt lgkmcnt(1)
	v_dot2_f32_f16 v63, v16, v8, v63
	v_dot2_f32_f16 v64, v16, v9, v64
	;; [unrolled: 1-line block ×16, first 2 shown]
	ds_read_b128 v[8:11], v3 offset:28672
	v_dot2_f32_f16 v75, v16, v12, v75
	v_dot2_f32_f16 v76, v16, v13, v76
	;; [unrolled: 1-line block ×16, first 2 shown]
	ds_read_b128 v[12:15], v3 offset:28928
	ds_read_b128 v[16:19], v2 offset:12544
	s_waitcnt lgkmcnt(2)
	v_dot2_f32_f16 v32, v4, v8, v32
	v_dot2_f32_f16 v36, v4, v9, v36
	;; [unrolled: 1-line block ×16, first 2 shown]
	s_waitcnt lgkmcnt(1)
	v_dot2_f32_f16 v51, v4, v12, v51
	v_dot2_f32_f16 v52, v4, v13, v52
	;; [unrolled: 1-line block ×16, first 2 shown]
	ds_read_b128 v[4:7], v2 offset:12800
	s_waitcnt lgkmcnt(1)
	v_dot2_f32_f16 v63, v16, v8, v63
	v_dot2_f32_f16 v64, v16, v9, v64
	;; [unrolled: 1-line block ×16, first 2 shown]
	ds_read_b128 v[8:11], v3 offset:29184
	v_dot2_f32_f16 v75, v16, v12, v75
	v_dot2_f32_f16 v76, v16, v13, v76
	v_dot2_f32_f16 v77, v16, v14, v77
	v_dot2_f32_f16 v33, v16, v15, v33
	v_dot2_f32_f16 v78, v17, v12, v78
	v_dot2_f32_f16 v79, v17, v13, v79
	v_dot2_f32_f16 v80, v17, v14, v80
	v_dot2_f32_f16 v34, v17, v15, v34
	v_dot2_f32_f16 v81, v18, v12, v81
	v_dot2_f32_f16 v82, v18, v13, v82
	v_dot2_f32_f16 v83, v18, v14, v83
	v_dot2_f32_f16 v35, v18, v15, v35
	v_dot2_f32_f16 v29, v19, v12, v29
	v_dot2_f32_f16 v30, v19, v13, v30
	v_dot2_f32_f16 v20, v19, v14, v20
	v_dot2_f32_f16 v31, v19, v15, v31
	ds_read_b128 v[12:15], v3 offset:29440
	ds_read_b128 v[16:19], v2 offset:13056
	s_waitcnt lgkmcnt(2)
	v_dot2_f32_f16 v32, v4, v8, v32
	v_dot2_f32_f16 v36, v4, v9, v36
	;; [unrolled: 1-line block ×16, first 2 shown]
	s_waitcnt lgkmcnt(1)
	v_dot2_f32_f16 v51, v4, v12, v51
	v_dot2_f32_f16 v52, v4, v13, v52
	;; [unrolled: 1-line block ×16, first 2 shown]
	ds_read_b128 v[4:7], v2 offset:13312
	s_waitcnt lgkmcnt(1)
	v_dot2_f32_f16 v63, v16, v8, v63
	v_dot2_f32_f16 v64, v16, v9, v64
	;; [unrolled: 1-line block ×16, first 2 shown]
	ds_read_b128 v[8:11], v3 offset:29696
	v_dot2_f32_f16 v75, v16, v12, v75
	v_dot2_f32_f16 v76, v16, v13, v76
	;; [unrolled: 1-line block ×16, first 2 shown]
	ds_read_b128 v[12:15], v3 offset:29952
	ds_read_b128 v[16:19], v2 offset:13568
	s_waitcnt lgkmcnt(2)
	v_dot2_f32_f16 v32, v4, v8, v32
	v_dot2_f32_f16 v36, v4, v9, v36
	;; [unrolled: 1-line block ×16, first 2 shown]
	s_waitcnt lgkmcnt(1)
	v_dot2_f32_f16 v51, v4, v12, v51
	v_dot2_f32_f16 v52, v4, v13, v52
	;; [unrolled: 1-line block ×16, first 2 shown]
	ds_read_b128 v[4:7], v2 offset:13824
	s_waitcnt lgkmcnt(1)
	v_dot2_f32_f16 v63, v16, v8, v63
	v_dot2_f32_f16 v64, v16, v9, v64
	;; [unrolled: 1-line block ×16, first 2 shown]
	ds_read_b128 v[8:11], v3 offset:30208
	v_dot2_f32_f16 v75, v16, v12, v75
	v_dot2_f32_f16 v76, v16, v13, v76
	;; [unrolled: 1-line block ×16, first 2 shown]
	ds_read_b128 v[12:15], v3 offset:30464
	ds_read_b128 v[16:19], v2 offset:14080
	s_waitcnt lgkmcnt(2)
	v_dot2_f32_f16 v32, v4, v8, v32
	v_dot2_f32_f16 v36, v4, v9, v36
	;; [unrolled: 1-line block ×16, first 2 shown]
	s_waitcnt lgkmcnt(1)
	v_dot2_f32_f16 v51, v4, v12, v51
	v_dot2_f32_f16 v52, v4, v13, v52
	;; [unrolled: 1-line block ×16, first 2 shown]
	ds_read_b128 v[4:7], v2 offset:14336
	s_waitcnt lgkmcnt(1)
	v_dot2_f32_f16 v63, v16, v8, v63
	v_dot2_f32_f16 v64, v16, v9, v64
	;; [unrolled: 1-line block ×16, first 2 shown]
	ds_read_b128 v[8:11], v3 offset:30720
	v_dot2_f32_f16 v75, v16, v12, v75
	v_dot2_f32_f16 v76, v16, v13, v76
	;; [unrolled: 1-line block ×16, first 2 shown]
	ds_read_b128 v[12:15], v3 offset:30976
	ds_read_b128 v[16:19], v2 offset:14592
	s_waitcnt lgkmcnt(2)
	v_dot2_f32_f16 v32, v4, v8, v32
	v_dot2_f32_f16 v36, v4, v9, v36
	;; [unrolled: 1-line block ×16, first 2 shown]
	s_waitcnt lgkmcnt(1)
	v_dot2_f32_f16 v51, v4, v12, v51
	v_dot2_f32_f16 v52, v4, v13, v52
	;; [unrolled: 1-line block ×16, first 2 shown]
	ds_read_b128 v[4:7], v2 offset:14848
	s_waitcnt lgkmcnt(1)
	v_dot2_f32_f16 v63, v16, v8, v63
	v_dot2_f32_f16 v64, v16, v9, v64
	;; [unrolled: 1-line block ×16, first 2 shown]
	ds_read_b128 v[8:11], v3 offset:31232
	v_dot2_f32_f16 v75, v16, v12, v75
	v_dot2_f32_f16 v76, v16, v13, v76
	;; [unrolled: 1-line block ×16, first 2 shown]
	ds_read_b128 v[12:15], v3 offset:31488
	ds_read_b128 v[16:19], v2 offset:15104
	s_waitcnt lgkmcnt(2)
	v_dot2_f32_f16 v32, v4, v8, v32
	v_dot2_f32_f16 v36, v4, v9, v36
	;; [unrolled: 1-line block ×16, first 2 shown]
	s_waitcnt lgkmcnt(1)
	v_dot2_f32_f16 v51, v4, v12, v51
	v_dot2_f32_f16 v52, v4, v13, v52
	;; [unrolled: 1-line block ×16, first 2 shown]
	ds_read_b128 v[4:7], v2 offset:15360
	s_waitcnt lgkmcnt(1)
	v_dot2_f32_f16 v63, v16, v8, v63
	v_dot2_f32_f16 v64, v16, v9, v64
	;; [unrolled: 1-line block ×16, first 2 shown]
	ds_read_b128 v[8:11], v3 offset:31744
	v_dot2_f32_f16 v75, v16, v12, v75
	v_dot2_f32_f16 v76, v16, v13, v76
	v_dot2_f32_f16 v77, v16, v14, v77
	v_dot2_f32_f16 v33, v16, v15, v33
	v_dot2_f32_f16 v78, v17, v12, v78
	v_dot2_f32_f16 v79, v17, v13, v79
	v_dot2_f32_f16 v80, v17, v14, v80
	v_dot2_f32_f16 v34, v17, v15, v34
	v_dot2_f32_f16 v81, v18, v12, v81
	v_dot2_f32_f16 v82, v18, v13, v82
	v_dot2_f32_f16 v83, v18, v14, v83
	v_dot2_f32_f16 v35, v18, v15, v35
	v_dot2_f32_f16 v29, v19, v12, v29
	v_dot2_f32_f16 v30, v19, v13, v30
	v_dot2_f32_f16 v20, v19, v14, v20
	v_dot2_f32_f16 v31, v19, v15, v31
	ds_read_b128 v[12:15], v3 offset:32000
	ds_read_b128 v[16:19], v2 offset:15616
	s_waitcnt lgkmcnt(2)
	v_dot2_f32_f16 v32, v4, v8, v32
	v_dot2_f32_f16 v36, v4, v9, v36
	;; [unrolled: 1-line block ×4, first 2 shown]
	s_waitcnt lgkmcnt(0)
	v_dot2_f32_f16 v118, v19, v15, v31
	v_or_b32_e32 v31, s23, v1
	v_mul_lo_u32 v1, v31, s26
	v_dot2_f32_f16 v111, v17, v15, v34
	v_add_u32_e32 v34, s16, v0
	v_dot2_f32_f16 v39, v5, v8, v39
	v_mad_u64_u32 v[0:1], s[0:1], v34, s27, v[1:2]
	v_dot2_f32_f16 v84, v5, v9, v40
	v_dot2_f32_f16 v85, v5, v10, v41
	v_lshlrev_b32_e32 v1, 1, v0
	v_dot2_f32_f16 v42, v5, v11, v42
	v_dot2_f32_f16 v43, v6, v8, v43
	;; [unrolled: 1-line block ×25, first 2 shown]
	ds_read_b128 v[4:7], v2 offset:15872
	ds_read_b128 v[44:47], v3 offset:32256
	v_dot2_f32_f16 v100, v16, v8, v63
	v_dot2_f32_f16 v101, v16, v9, v64
	;; [unrolled: 1-line block ×3, first 2 shown]
	ds_read_b128 v[52:55], v3 offset:32512
	ds_read_b128 v[61:64], v2 offset:16128
	buffer_load_dwordx2 v[20:21], v1, s[36:39], 0 offen
	v_add_u32_e32 v2, s26, v0
	v_dot2_f32_f16 v109, v16, v15, v33
	s_waitcnt lgkmcnt(1)
	v_dot2_f32_f16 v33, v5, v55, v22
	v_dot2_f32_f16 v22, v6, v54, v59
	v_add_u32_e32 v59, s26, v2
	v_dot2_f32_f16 v75, v16, v12, v75
	v_dot2_f32_f16 v110, v17, v12, v78
	;; [unrolled: 1-line block ×4, first 2 shown]
	v_add_lshl_u32 v12, v59, s6, 1
	v_dot2_f32_f16 v122, v5, v45, v84
	v_dot2_f32_f16 v24, v5, v46, v85
	buffer_load_dwordx2 v[84:85], v12, s[36:39], 0 offen
	v_add_lshl_u32 v1, v0, s6, 1
	buffer_load_dwordx2 v[48:49], v1, s[36:39], 0 offen
	v_lshlrev_b32_e32 v0, 1, v2
	v_dot2_f32_f16 v102, v17, v11, v70
	v_dot2_f32_f16 v103, v18, v8, v71
	buffer_load_dwordx2 v[70:71], v0, s[36:39], 0 offen
	v_add_lshl_u32 v0, v2, s6, 1
	v_dot2_f32_f16 v108, v16, v14, v77
	buffer_load_dwordx2 v[77:78], v0, s[36:39], 0 offen
	v_lshlrev_b32_e32 v2, 1, v59
	v_dot2_f32_f16 v112, v18, v13, v82
	v_dot2_f32_f16 v113, v18, v14, v83
	buffer_load_dwordx2 v[82:83], v2, s[36:39], 0 offen
	v_dot2_f32_f16 v68, v17, v9, v68
	v_dot2_f32_f16 v72, v18, v9, v72
	;; [unrolled: 1-line block ×14, first 2 shown]
	s_waitcnt lgkmcnt(0)
	v_dot2_f32_f16 v30, v61, v45, v101
	v_dot2_f32_f16 v43, v62, v45, v68
	;; [unrolled: 1-line block ×4, first 2 shown]
	v_add_u32_e32 v45, s26, v59
	v_dot2_f32_f16 v104, v19, v8, v25
	v_dot2_f32_f16 v106, v19, v10, v27
	;; [unrolled: 1-line block ×16, first 2 shown]
	v_lshlrev_b32_e32 v47, 1, v45
	v_dot2_f32_f16 v73, v18, v10, v73
	v_dot2_f32_f16 v18, v6, v46, v87
	buffer_load_dwordx2 v[86:87], v47, s[36:39], 0 offen
	v_dot2_f32_f16 v67, v17, v8, v67
	v_dot2_f32_f16 v76, v16, v13, v76
	v_dot2_f32_f16 v79, v17, v13, v79
	v_dot2_f32_f16 v65, v16, v10, v65
	v_dot2_f32_f16 v69, v17, v10, v69
	v_dot2_f32_f16 v40, v4, v46, v37
	v_dot2_f32_f16 v27, v7, v44, v89
	v_dot2_f32_f16 v10, v7, v46, v91
	v_dot2_f32_f16 v91, v4, v53, v92
	v_dot2_f32_f16 v124, v6, v53, v58
	v_dot2_f32_f16 v28, v7, v53, v97
	v_dot2_f32_f16 v29, v61, v44, v100
	v_dot2_f32_f16 v42, v62, v44, v67
	v_dot2_f32_f16 v50, v63, v44, v103
	v_dot2_f32_f16 v56, v64, v44, v104
	v_dot2_f32_f16 v37, v61, v53, v76
	v_dot2_f32_f16 v44, v62, v53, v79
	v_dot2_f32_f16 v66, v63, v53, v112
	v_dot2_f32_f16 v68, v64, v53, v116
	v_add_lshl_u32 v53, v45, s6, 1
	buffer_load_dwordx2 v[88:89], v53, s[36:39], 0 offen
	v_cmp_gt_i32_e32 vcc, s14, v34
	v_cmp_gt_i32_e64 s[2:3], s15, v31
	s_and_b64 s[0:1], s[2:3], vcc
	v_dot2_f32_f16 v8, v63, v46, v73
	s_waitcnt vmcnt(7)
	v_cndmask_b32_e64 v73, 0, v21, s[0:1]
	v_cndmask_b32_e64 v21, 0, v20, s[0:1]
	v_cvt_f32_f16_e32 v47, v21
	v_dot2_f32_f16 v80, v17, v14, v80
	v_dot2_f32_f16 v38, v4, v54, v93
	v_dot2_f32_f16 v57, v6, v52, v57
	v_dot2_f32_f16 v16, v7, v54, v98
	v_dot2_f32_f16 v0, v61, v46, v65
	v_dot2_f32_f16 v4, v62, v46, v69
	v_dot2_f32_f16 v14, v64, v46, v106
	v_dot2_f32_f16 v98, v61, v52, v75
	v_dot2_f32_f16 v46, v62, v52, v110
	v_dot2_f32_f16 v58, v63, v52, v81
	v_dot2_f32_f16 v69, v64, v52, v115
	v_cvt_f32_f16_sdwa v52, v21 dst_sel:DWORD dst_unused:UNUSED_PAD src0_sel:WORD_1
	v_add_f32_e32 v47, v119, v47
	v_max_f32_e32 v75, 0, v47
	v_dot2_f32_f16 v12, v63, v54, v113
	v_add_f32_e32 v47, v120, v52
	v_add_u32_e32 v52, 64, v34
	v_cmp_gt_i32_e64 s[0:1], s14, v52
	s_and_b64 s[2:3], s[2:3], s[0:1]
	v_dot2_f32_f16 v13, v63, v55, v114
	s_waitcnt vmcnt(5)
	v_cndmask_b32_e64 v63, 0, v49, s[2:3]
	v_cndmask_b32_e64 v49, 0, v48, s[2:3]
	v_cvt_f32_f16_e32 v53, v49
	v_dot2_f32_f16 v23, v6, v55, v23
	v_dot2_f32_f16 v6, v62, v54, v80
	v_max_f32_e32 v80, 0, v47
	v_mad_u64_u32 v[47:48], s[2:3], s26, 61, v[45:46]
	v_add_f32_e32 v45, v90, v53
	v_cvt_f32_f16_sdwa v53, v49 dst_sel:DWORD dst_unused:UNUSED_PAD src0_sel:WORD_1
	v_max_f32_e32 v74, 0, v45
	v_lshlrev_b32_e32 v45, 1, v47
	buffer_load_dwordx2 v[48:49], v45, s[36:39], 0 offen
	v_or_b32_e32 v59, 1, v31
	v_cmp_gt_i32_e64 s[2:3], s15, v59
	s_and_b64 s[4:5], s[2:3], vcc
	v_add_f32_e32 v45, v91, v53
	s_waitcnt vmcnt(5)
	v_cndmask_b32_e64 v53, 0, v70, s[4:5]
	v_dot2_f32_f16 v17, v7, v55, v99
	v_dot2_f32_f16 v3, v61, v55, v109
	;; [unrolled: 1-line block ×4, first 2 shown]
	v_cvt_f32_f16_e32 v55, v53
	v_max_f32_e32 v81, 0, v45
	s_and_b64 s[2:3], s[2:3], s[0:1]
	v_dot2_f32_f16 v2, v61, v54, v108
	v_add_f32_e32 v45, v121, v55
	v_add_lshl_u32 v61, v47, s6, 1
	v_max_f32_e32 v62, 0, v45
	v_cvt_f32_f16_sdwa v45, v53 dst_sel:DWORD dst_unused:UNUSED_PAD src0_sel:WORD_1
	s_waitcnt vmcnt(4)
	v_cndmask_b32_e64 v53, 0, v77, s[2:3]
	buffer_load_dwordx2 v[90:91], v61, s[36:39], 0 offen
	v_cvt_f32_f16_e32 v55, v53
	v_add_u32_e32 v47, s26, v47
	v_lshlrev_b32_e32 v61, 1, v47
	buffer_load_dwordx2 v[92:93], v61, s[36:39], 0 offen
	v_add_f32_e32 v45, v122, v45
	v_max_f32_e32 v72, 0, v45
	v_add_f32_e32 v45, v94, v55
	v_cvt_f32_f16_sdwa v53, v53 dst_sel:DWORD dst_unused:UNUSED_PAD src0_sel:WORD_1
	v_or_b32_e32 v55, 2, v31
	v_cndmask_b32_e64 v76, 0, v78, s[2:3]
	v_cmp_gt_i32_e64 s[2:3], s15, v55
	v_add_lshl_u32 v61, v47, s6, 1
	v_dot2_f32_f16 v20, v64, v54, v117
	v_cndmask_b32_e64 v54, 0, v71, s[4:5]
	buffer_load_dwordx2 v[94:95], v61, s[36:39], 0 offen
	s_and_b64 s[4:5], s[2:3], vcc
	s_waitcnt vmcnt(6)
	v_cndmask_b32_e64 v61, 0, v82, s[4:5]
	v_max_f32_e32 v99, 0, v45
	v_add_f32_e32 v45, v96, v53
	v_cvt_f32_f16_sdwa v53, v61 dst_sel:DWORD dst_unused:UNUSED_PAD src0_sel:WORD_1
	v_cvt_f32_f16_e32 v64, v61
	v_add_u32_e32 v47, s26, v47
	v_max_f32_e32 v100, 0, v45
	v_add_f32_e32 v36, v36, v53
	v_add_f32_e32 v45, v123, v64
	v_lshlrev_b32_e32 v61, 1, v47
	s_and_b64 s[2:3], s[2:3], s[0:1]
	v_max_f32_e32 v79, 0, v36
	v_add_lshl_u32 v36, v47, s6, 1
	v_cndmask_b32_e64 v67, 0, v83, s[4:5]
	buffer_load_dwordx2 v[96:97], v61, s[36:39], 0 offen
	v_max_f32_e32 v78, 0, v45
	v_cndmask_b32_e64 v45, 0, v84, s[2:3]
	buffer_load_dwordx2 v[83:84], v36, s[36:39], 0 offen
	v_cvt_f32_f16_e32 v53, v45
	v_cndmask_b32_e64 v65, 0, v85, s[2:3]
	v_add_u32_e32 v47, s26, v47
	v_lshlrev_b32_e32 v70, 1, v47
	v_add_f32_e32 v36, v57, v53
	v_or_b32_e32 v57, 3, v31
	v_cmp_gt_i32_e64 s[2:3], s15, v57
	s_and_b64 s[4:5], s[2:3], vcc
	s_waitcnt vmcnt(7)
	v_cndmask_b32_e64 v61, 0, v86, s[4:5]
	buffer_load_dwordx2 v[85:86], v70, s[36:39], 0 offen
	v_cvt_f32_f16_sdwa v45, v45 dst_sel:DWORD dst_unused:UNUSED_PAD src0_sel:WORD_1
	s_and_b64 s[2:3], s[2:3], s[0:1]
	v_add_lshl_u32 v47, v47, s6, 1
	v_cndmask_b32_e64 v53, 0, v87, s[4:5]
	v_max_f32_e32 v82, 0, v36
	v_add_f32_e32 v36, v124, v45
	s_waitcnt vmcnt(7)
	v_cndmask_b32_e64 v45, 0, v88, s[2:3]
	buffer_load_dwordx2 v[87:88], v47, s[36:39], 0 offen
	v_max_f32_e32 v101, 0, v36
	v_cvt_f32_f16_sdwa v36, v61 dst_sel:DWORD dst_unused:UNUSED_PAD src0_sel:WORD_1
	v_cvt_f32_f16_e32 v47, v45
	v_cndmask_b32_e64 v77, 0, v89, s[2:3]
	v_cvt_f32_f16_e32 v64, v61
	v_add_f32_e32 v26, v26, v36
	v_max_f32_e32 v71, 0, v26
	v_or_b32_e32 v26, 64, v31
	v_cmp_gt_i32_e64 s[2:3], s15, v26
	s_and_b64 s[4:5], s[2:3], vcc
	v_cvt_f32_f16_sdwa v36, v45 dst_sel:DWORD dst_unused:UNUSED_PAD src0_sel:WORD_1
	s_waitcnt vmcnt(7)
	v_cndmask_b32_e64 v45, 0, v48, s[4:5]
	v_add_f32_e32 v35, v35, v47
	v_cvt_f32_f16_e32 v47, v45
	v_add_f32_e32 v28, v28, v36
	v_max_f32_e32 v102, 0, v28
	s_and_b64 s[2:3], s[2:3], s[0:1]
	v_add_f32_e32 v28, v29, v47
	v_cvt_f32_f16_sdwa v29, v45 dst_sel:DWORD dst_unused:UNUSED_PAD src0_sel:WORD_1
	v_add_f32_e32 v27, v27, v64
	v_max_f32_e32 v89, 0, v35
	v_max_f32_e32 v70, 0, v27
	v_add_f32_e32 v29, v30, v29
	v_or_b32_e32 v30, 0x41, v31
	v_cndmask_b32_e64 v27, 0, v49, s[4:5]
	s_lshl_b32 s26, s13, 1
	s_mov_b32 s27, s31
	s_waitcnt vmcnt(6)
	v_cndmask_b32_e64 v35, 0, v91, s[2:3]
	v_cndmask_b32_e64 v36, 0, v90, s[2:3]
	v_cmp_gt_i32_e64 s[2:3], s15, v30
	s_and_b64 s[4:5], s[2:3], vcc
	v_cvt_f32_f16_e32 v45, v36
	v_cvt_f32_f16_sdwa v48, v36 dst_sel:DWORD dst_unused:UNUSED_PAD src0_sel:WORD_1
	s_waitcnt vmcnt(5)
	v_cndmask_b32_e64 v49, 0, v92, s[4:5]
	v_cvt_f32_f16_e32 v61, v49
	s_and_b64 s[2:3], s[2:3], s[0:1]
	v_add_f32_e32 v47, v98, v45
	v_add_f32_e32 v37, v37, v48
	v_cvt_f32_f16_sdwa v48, v49 dst_sel:DWORD dst_unused:UNUSED_PAD src0_sel:WORD_1
	v_max_f32_e32 v36, 0, v47
	v_add_f32_e32 v47, v42, v61
	v_cndmask_b32_e64 v45, 0, v93, s[4:5]
	s_waitcnt vmcnt(4)
	v_cndmask_b32_e64 v49, 0, v94, s[2:3]
	v_cvt_f32_f16_e32 v61, v49
	v_add_f32_e32 v43, v43, v48
	v_max_f32_e32 v48, 0, v43
	v_cndmask_b32_e64 v42, 0, v95, s[2:3]
	v_add_f32_e32 v43, v46, v61
	v_cvt_f32_f16_sdwa v61, v49 dst_sel:DWORD dst_unused:UNUSED_PAD src0_sel:WORD_1
	v_or_b32_e32 v46, 0x42, v31
	v_cmp_gt_i32_e64 s[2:3], s15, v46
	s_and_b64 s[4:5], s[2:3], vcc
	s_and_b64 s[2:3], s[2:3], s[0:1]
	v_add_f32_e32 v44, v44, v61
	v_max_f32_e32 v47, 0, v47
	v_max_f32_e32 v43, 0, v43
	;; [unrolled: 1-line block ×4, first 2 shown]
	s_waitcnt vmcnt(3)
	v_cndmask_b32_e64 v64, 0, v96, s[4:5]
	v_cvt_f32_f16_e32 v90, v64
	v_cvt_f32_f16_sdwa v64, v64 dst_sel:DWORD dst_unused:UNUSED_PAD src0_sel:WORD_1
	s_waitcnt vmcnt(2)
	v_cndmask_b32_e64 v83, 0, v83, s[2:3]
	v_cndmask_b32_e64 v61, 0, v84, s[2:3]
	v_cvt_f32_f16_e32 v84, v83
	v_add_f32_e32 v51, v51, v64
	v_cvt_f32_f16_sdwa v83, v83 dst_sel:DWORD dst_unused:UNUSED_PAD src0_sel:WORD_1
	v_cndmask_b32_e64 v49, 0, v97, s[4:5]
	v_add_f32_e32 v64, v58, v84
	v_or_b32_e32 v58, 0x43, v31
	v_cmp_gt_i32_e64 s[2:3], s15, v58
	s_and_b64 vcc, s[2:3], vcc
	s_waitcnt vmcnt(1)
	v_cndmask_b32_e32 v85, 0, v85, vcc
	v_cndmask_b32_e32 v84, 0, v86, vcc
	v_cvt_f32_f16_e32 v86, v85
	v_cvt_f32_f16_sdwa v85, v85 dst_sel:DWORD dst_unused:UNUSED_PAD src0_sel:WORD_1
	s_and_b64 vcc, s[2:3], s[0:1]
	v_add_f32_e32 v66, v66, v83
	v_add_f32_e32 v56, v56, v86
	;; [unrolled: 1-line block ×3, first 2 shown]
	s_waitcnt vmcnt(0)
	v_cndmask_b32_e32 v86, 0, v87, vcc
	v_cvt_f32_f16_e32 v87, v86
	v_cvt_f32_f16_sdwa v85, v86 dst_sel:DWORD dst_unused:UNUSED_PAD src0_sel:WORD_1
	v_max_f32_e32 v86, 0, v60
	v_max_f32_e32 v83, 0, v56
	v_add_f32_e32 v60, v69, v87
	v_max_f32_e32 v87, 0, v60
	v_add_f32_e32 v60, v68, v85
	v_cvt_f32_f16_sdwa v68, v73 dst_sel:DWORD dst_unused:UNUSED_PAD src0_sel:WORD_1
	v_cvt_f32_f16_e32 v69, v73
	v_max_f32_e32 v85, 0, v60
	v_mul_lo_u32 v60, v31, s8
	v_add_f32_e32 v41, v41, v68
	v_add_f32_e32 v40, v40, v69
	v_max_f32_e32 v40, 0, v40
	v_max_f32_e32 v41, 0, v41
	v_cvt_f16_f32_e32 v73, v75
	v_cvt_f16_f32_e32 v75, v80
	v_cvt_f16_f32_e32 v69, v41
	v_cvt_f16_f32_e32 v80, v40
	v_mad_u64_u32 v[40:41], s[0:1], v34, s9, v[60:61]
	v_cndmask_b32_e32 v56, 0, v88, vcc
	v_cmp_gt_i32_e32 vcc, s12, v34
	v_cmp_gt_i32_e64 s[2:3], s10, v31
	v_bfrev_b32_e32 v31, 1
	s_and_b64 s[0:1], s[2:3], vcc
	v_cndmask_b32_e64 v34, v31, 0, s[0:1]
	v_pack_b32_f16 v68, v73, v75
	v_pack_b32_f16 v69, v80, v69
	v_lshl_add_u32 v34, v40, 1, v34
	buffer_store_dwordx2 v[68:69], v34, s[24:27], 0 offen
	v_cvt_f32_f16_sdwa v34, v63 dst_sel:DWORD dst_unused:UNUSED_PAD src0_sel:WORD_1
	v_cvt_f32_f16_e32 v41, v63
	v_cvt_f16_f32_e32 v60, v74
	v_cvt_f16_f32_e32 v63, v81
	v_add_f32_e32 v34, v39, v34
	v_add_f32_e32 v38, v38, v41
	v_max_f32_e32 v38, 0, v38
	v_max_f32_e32 v34, 0, v34
	v_cvt_f16_f32_e32 v34, v34
	v_cvt_f16_f32_e32 v39, v38
	v_pack_b32_f16 v38, v60, v63
	v_cmp_gt_i32_e64 s[0:1], s12, v52
	v_cvt_f32_f16_sdwa v52, v76 dst_sel:DWORD dst_unused:UNUSED_PAD src0_sel:WORD_1
	v_cvt_f32_f16_e32 v60, v76
	s_lshl_b32 s4, s9, 6
	s_and_b64 s[2:3], s[2:3], s[0:1]
	v_add_u32_e32 v41, s4, v40
	v_pack_b32_f16 v39, v39, v34
	v_cndmask_b32_e64 v34, v31, 0, s[2:3]
	v_lshl_add_u32 v34, v41, 1, v34
	v_add_f32_e32 v33, v33, v52
	v_add_f32_e32 v32, v32, v60
	buffer_store_dwordx2 v[38:39], v34, s[24:27], 0 offen
	v_add_u32_e32 v34, s8, v41
	v_cvt_f32_f16_sdwa v39, v54 dst_sel:DWORD dst_unused:UNUSED_PAD src0_sel:WORD_1
	v_cvt_f32_f16_e32 v41, v54
	v_max_f32_e32 v32, 0, v32
	v_max_f32_e32 v33, 0, v33
	v_cvt_f16_f32_e32 v33, v33
	v_cvt_f16_f32_e32 v52, v32
	;; [unrolled: 1-line block ×4, first 2 shown]
	v_add_f32_e32 v25, v25, v39
	v_add_f32_e32 v24, v24, v41
	v_cmp_gt_i32_e64 s[2:3], s10, v59
	v_max_f32_e32 v24, 0, v24
	v_max_f32_e32 v25, 0, v25
	v_pack_b32_f16 v33, v52, v33
	s_and_b64 s[6:7], s[2:3], s[0:1]
	v_cvt_f16_f32_e32 v52, v62
	v_cvt_f16_f32_e32 v54, v72
	;; [unrolled: 1-line block ×4, first 2 shown]
	v_cndmask_b32_e64 v38, v31, 0, s[6:7]
	v_pack_b32_f16 v32, v63, v68
	v_lshl_add_u32 v38, v34, 1, v38
	s_and_b64 s[2:3], s[2:3], vcc
	buffer_store_dwordx2 v[32:33], v38, s[24:27], 0 offen
	v_add_u32_e32 v32, s8, v40
	v_cndmask_b32_e64 v33, v31, 0, s[2:3]
	v_cmp_gt_i32_e64 s[2:3], s10, v55
	v_pack_b32_f16 v24, v52, v54
	v_pack_b32_f16 v25, v39, v25
	v_lshl_add_u32 v33, v32, 1, v33
	s_and_b64 s[6:7], s[2:3], vcc
	v_cvt_f32_f16_sdwa v38, v67 dst_sel:DWORD dst_unused:UNUSED_PAD src0_sel:WORD_1
	v_cvt_f32_f16_e32 v39, v67
	buffer_store_dwordx2 v[24:25], v33, s[24:27], 0 offen
	v_add_u32_e32 v24, s8, v32
	v_cndmask_b32_e64 v25, v31, 0, s[6:7]
	v_lshl_add_u32 v24, v24, 1, v25
	v_cvt_f32_f16_sdwa v25, v65 dst_sel:DWORD dst_unused:UNUSED_PAD src0_sel:WORD_1
	v_cvt_f32_f16_e32 v32, v65
	v_add_f32_e32 v19, v19, v38
	v_add_f32_e32 v18, v18, v39
	v_max_f32_e32 v18, 0, v18
	v_max_f32_e32 v19, 0, v19
	v_add_f32_e32 v23, v23, v25
	v_add_f32_e32 v22, v22, v32
	v_cvt_f16_f32_e32 v40, v78
	v_cvt_f16_f32_e32 v41, v79
	;; [unrolled: 1-line block ×4, first 2 shown]
	v_max_f32_e32 v22, 0, v22
	v_max_f32_e32 v23, 0, v23
	v_cvt_f16_f32_e32 v23, v23
	v_cvt_f16_f32_e32 v22, v22
	v_pack_b32_f16 v18, v40, v41
	v_pack_b32_f16 v19, v38, v19
	buffer_store_dwordx2 v[18:19], v24, s[24:27], 0 offen
	v_pack_b32_f16 v19, v22, v23
	v_cvt_f32_f16_sdwa v23, v77 dst_sel:DWORD dst_unused:UNUSED_PAD src0_sel:WORD_1
	v_cvt_f32_f16_e32 v25, v77
	v_cvt_f16_f32_e32 v33, v82
	v_cvt_f16_f32_e32 v38, v101
	v_add_f32_e32 v17, v17, v23
	v_add_f32_e32 v16, v16, v25
	v_max_f32_e32 v16, 0, v16
	v_max_f32_e32 v17, 0, v17
	v_cvt_f16_f32_e32 v17, v17
	v_cvt_f16_f32_e32 v23, v16
	s_and_b64 s[2:3], s[2:3], s[0:1]
	v_add_u32_e32 v24, s8, v34
	v_cndmask_b32_e64 v22, v31, 0, s[2:3]
	v_pack_b32_f16 v18, v33, v38
	v_lshl_add_u32 v22, v24, 1, v22
	buffer_store_dwordx2 v[18:19], v22, s[24:27], 0 offen
	v_pack_b32_f16 v17, v23, v17
	v_cvt_f32_f16_sdwa v22, v53 dst_sel:DWORD dst_unused:UNUSED_PAD src0_sel:WORD_1
	v_cvt_f32_f16_e32 v23, v53
	v_cvt_f16_f32_e32 v32, v89
	v_cvt_f16_f32_e32 v33, v102
	v_add_f32_e32 v11, v11, v22
	v_add_f32_e32 v10, v10, v23
	v_cmp_gt_i32_e64 s[2:3], s10, v57
	v_max_f32_e32 v10, 0, v10
	v_max_f32_e32 v11, 0, v11
	v_pack_b32_f16 v16, v32, v33
	s_and_b64 s[6:7], s[2:3], s[0:1]
	v_cvt_f16_f32_e32 v25, v70
	v_cvt_f16_f32_e32 v32, v71
	;; [unrolled: 1-line block ×4, first 2 shown]
	v_add_u32_e32 v18, s8, v24
	v_cndmask_b32_e64 v19, v31, 0, s[6:7]
	v_lshl_add_u32 v19, v18, 1, v19
	s_and_b64 s[2:3], s[2:3], vcc
	buffer_store_dwordx2 v[16:17], v19, s[24:27], 0 offen
	v_subrev_u32_e32 v16, s4, v18
	v_cndmask_b32_e64 v17, v31, 0, s[2:3]
	v_pack_b32_f16 v10, v25, v32
	v_pack_b32_f16 v11, v22, v11
	v_lshl_add_u32 v17, v16, 1, v17
	buffer_store_dwordx2 v[10:11], v17, s[24:27], 0 offen
	v_cvt_f32_f16_sdwa v10, v84 dst_sel:DWORD dst_unused:UNUSED_PAD src0_sel:WORD_1
	v_cvt_f32_f16_e32 v11, v84
	v_cmp_gt_i32_e64 s[2:3], s10, v58
	s_lshl_b32 s5, s8, 6
	v_add_f32_e32 v10, v15, v10
	v_add_f32_e32 v11, v14, v11
	v_max_f32_e32 v11, 0, v11
	v_max_f32_e32 v10, 0, v10
	v_cvt_f16_f32_e32 v14, v10
	v_cvt_f16_f32_e32 v11, v11
	s_and_b64 s[6:7], s[2:3], vcc
	v_add_u32_e32 v15, s5, v16
	v_cvt_f32_f16_e32 v16, v56
	v_pack_b32_f16 v11, v11, v14
	v_cndmask_b32_e64 v14, v31, 0, s[6:7]
	v_lshl_add_u32 v14, v15, 1, v14
	v_cvt_f32_f16_sdwa v15, v56 dst_sel:DWORD dst_unused:UNUSED_PAD src0_sel:WORD_1
	v_add_f32_e32 v16, v20, v16
	v_cvt_f16_f32_e32 v17, v83
	v_cvt_f16_f32_e32 v19, v86
	v_add_f32_e32 v15, v21, v15
	v_max_f32_e32 v16, 0, v16
	v_max_f32_e32 v15, 0, v15
	v_cvt_f16_f32_e32 v15, v15
	v_cvt_f16_f32_e32 v16, v16
	v_pack_b32_f16 v10, v17, v19
	s_and_b64 s[2:3], s[2:3], s[0:1]
	buffer_store_dwordx2 v[10:11], v14, s[24:27], 0 offen
	v_add_u32_e32 v14, s5, v18
	v_pack_b32_f16 v11, v16, v15
	v_cndmask_b32_e64 v15, v31, 0, s[2:3]
	v_lshl_add_u32 v14, v14, 1, v15
	v_cvt_f32_f16_sdwa v15, v61 dst_sel:DWORD dst_unused:UNUSED_PAD src0_sel:WORD_1
	v_cvt_f32_f16_e32 v16, v61
	v_cvt_f16_f32_e32 v17, v87
	v_cvt_f16_f32_e32 v19, v85
	v_add_f32_e32 v13, v13, v15
	v_add_f32_e32 v12, v12, v16
	v_max_f32_e32 v12, 0, v12
	v_max_f32_e32 v13, 0, v13
	v_cvt_f16_f32_e32 v13, v13
	v_cvt_f16_f32_e32 v12, v12
	v_pack_b32_f16 v10, v17, v19
	buffer_store_dwordx2 v[10:11], v14, s[24:27], 0 offen
	v_cvt_f32_f16_e32 v15, v49
	v_pack_b32_f16 v11, v12, v13
	v_cvt_f32_f16_sdwa v13, v49 dst_sel:DWORD dst_unused:UNUSED_PAD src0_sel:WORD_1
	v_max_f32_e32 v64, 0, v64
	v_max_f32_e32 v66, 0, v66
	v_cvt_f16_f32_e32 v17, v64
	v_cvt_f16_f32_e32 v18, v66
	v_add_f32_e32 v50, v50, v90
	v_add_f32_e32 v9, v9, v13
	;; [unrolled: 1-line block ×3, first 2 shown]
	v_max_f32_e32 v50, 0, v50
	v_max_f32_e32 v51, 0, v51
	v_cmp_ge_i32_e64 s[2:3], s10, v58
	v_max_f32_e32 v8, 0, v8
	v_max_f32_e32 v9, 0, v9
	v_pack_b32_f16 v10, v17, v18
	s_and_b64 s[2:3], s[2:3], s[0:1]
	v_cvt_f16_f32_e32 v16, v50
	v_cvt_f16_f32_e32 v17, v51
	;; [unrolled: 1-line block ×4, first 2 shown]
	v_add_u32_e32 v14, s5, v24
	v_cndmask_b32_e64 v12, v31, 0, s[2:3]
	v_cmp_gt_i32_e64 s[2:3], s10, v46
	v_lshl_add_u32 v12, v14, 1, v12
	s_and_b64 s[2:3], s[2:3], vcc
	buffer_store_dwordx2 v[10:11], v12, s[24:27], 0 offen
	v_subrev_u32_e32 v10, s4, v14
	v_cndmask_b32_e64 v11, v31, 0, s[2:3]
	v_pack_b32_f16 v8, v16, v17
	v_pack_b32_f16 v9, v13, v9
	v_lshl_add_u32 v11, v10, 1, v11
	v_cvt_f32_f16_sdwa v12, v45 dst_sel:DWORD dst_unused:UNUSED_PAD src0_sel:WORD_1
	v_cvt_f32_f16_e32 v13, v45
	buffer_store_dwordx2 v[8:9], v11, s[24:27], 0 offen
	v_subrev_u32_e32 v8, s8, v10
	v_cvt_f32_f16_sdwa v10, v42 dst_sel:DWORD dst_unused:UNUSED_PAD src0_sel:WORD_1
	v_cvt_f32_f16_e32 v11, v42
	v_add_f32_e32 v5, v5, v12
	v_add_f32_e32 v4, v4, v13
	v_max_f32_e32 v4, 0, v4
	v_max_f32_e32 v5, 0, v5
	v_add_f32_e32 v7, v7, v10
	v_add_f32_e32 v6, v6, v11
	v_cvt_f16_f32_e32 v14, v47
	v_cvt_f16_f32_e32 v15, v48
	v_cvt_f16_f32_e32 v5, v5
	v_cvt_f16_f32_e32 v12, v4
	v_max_f32_e32 v6, 0, v6
	v_max_f32_e32 v7, 0, v7
	v_cmp_ge_i32_e64 s[2:3], s10, v46
	v_cvt_f16_f32_e32 v7, v7
	v_cvt_f16_f32_e32 v6, v6
	s_and_b64 s[2:3], s[2:3], vcc
	v_cndmask_b32_e64 v9, v31, 0, s[2:3]
	v_pack_b32_f16 v4, v14, v15
	v_pack_b32_f16 v5, v12, v5
	v_lshl_add_u32 v9, v8, 1, v9
	buffer_store_dwordx2 v[4:5], v9, s[24:27], 0 offen
	v_pack_b32_f16 v5, v6, v7
	v_cvt_f32_f16_sdwa v7, v35 dst_sel:DWORD dst_unused:UNUSED_PAD src0_sel:WORD_1
	v_cvt_f32_f16_e32 v9, v35
	v_cvt_f16_f32_e32 v12, v43
	v_cvt_f16_f32_e32 v13, v44
	v_add_f32_e32 v3, v3, v7
	v_add_f32_e32 v2, v2, v9
	v_max_f32_e32 v2, 0, v2
	v_max_f32_e32 v3, 0, v3
	v_cmp_gt_i32_e64 s[2:3], s10, v30
	v_cvt_f16_f32_e32 v3, v3
	v_cvt_f16_f32_e32 v7, v2
	s_and_b64 s[2:3], s[2:3], s[0:1]
	v_add_u32_e32 v8, s4, v8
	v_cndmask_b32_e64 v6, v31, 0, s[2:3]
	v_pack_b32_f16 v4, v12, v13
	v_lshl_add_u32 v6, v8, 1, v6
	buffer_store_dwordx2 v[4:5], v6, s[24:27], 0 offen
	v_pack_b32_f16 v3, v7, v3
	v_cvt_f32_f16_sdwa v6, v27 dst_sel:DWORD dst_unused:UNUSED_PAD src0_sel:WORD_1
	v_cvt_f32_f16_e32 v7, v27
	v_cvt_f16_f32_e32 v10, v36
	v_cvt_f16_f32_e32 v11, v37
	v_add_f32_e32 v1, v1, v6
	v_add_f32_e32 v0, v0, v7
	v_max_f32_e32 v28, 0, v28
	v_max_f32_e32 v29, 0, v29
	v_cmp_ge_i32_e64 s[2:3], s10, v30
	v_max_f32_e32 v0, 0, v0
	v_max_f32_e32 v1, 0, v1
	v_subrev_u32_e32 v4, s8, v8
	s_and_b64 s[0:1], s[2:3], s[0:1]
	v_cvt_f16_f32_e32 v8, v28
	v_cvt_f16_f32_e32 v9, v29
	;; [unrolled: 1-line block ×4, first 2 shown]
	v_cndmask_b32_e64 v5, v31, 0, s[0:1]
	v_cmp_gt_i32_e64 s[0:1], s10, v26
	v_pack_b32_f16 v2, v10, v11
	v_lshl_add_u32 v5, v4, 1, v5
	s_and_b64 s[0:1], s[0:1], vcc
	buffer_store_dwordx2 v[2:3], v5, s[24:27], 0 offen
	v_subrev_u32_e32 v2, s4, v4
	v_cndmask_b32_e64 v3, v31, 0, s[0:1]
	v_pack_b32_f16 v0, v8, v9
	v_pack_b32_f16 v1, v6, v1
	v_lshl_add_u32 v2, v2, 1, v3
	buffer_store_dwordx2 v[0:1], v2, s[24:27], 0 offen
	s_endpgm
	.section	.rodata,"a",@progbits
	.p2align	6, 0x0
	.amdhsa_kernel _ZN2ck16tensor_operation6device12_GLOBAL__N_137kernel_grouped_conv_fwd_dl_multiple_dINS_32GridwiseGemmDlMultipleD_km_kn_mnILi256EDF16_fNS_5TupleIJDF16_EEEDF16_NS0_12element_wise11PassThroughES8_NS7_7AddReluELNS_25InMemoryDataOperationEnumE0ENS_16TensorDescriptorINS5_IJNS_5EmbedINS5_IJiiiiiEEESD_Lb0EEENS_11PassThroughIiEENS_3PadIiiiLb0EEESI_SI_SG_SG_NSC_INS5_IJiiEEESJ_Lb0EEESK_SK_SG_NS_23Merge_v2_magic_divisionINS5_IJiiiiEEEEESN_NS_8RightPadIiiLb0EEESP_NS_7UnMergeISJ_Lb0EEESG_EEENS5_IJNS_8SequenceIJLi0EEEENST_IJLi1EEEENST_IJLi2EEEENST_IJLi3EEEENST_IJLi4EEEENST_IJLi5EEEENST_IJLi6EEEENST_IJLi7EEEENST_IJLi8EEEENST_IJLi9EEEENST_IJLi10EEEENST_IJLi11ELi13ELi15ELi17EEEENST_IJLi12ELi14ELi16ELi18EEEENST_IJLi19EEEENST_IJLi20EEEENST_IJLi22EEEENST_IJLi21EEEEEEENS5_IJNST_IJLi1ELi2ELi3ELi4ELi5EEEES10_S11_S12_S13_S14_NST_IJLi11EEEENST_IJLi12ELi13EEEENST_IJLi14ELi15EEEENST_IJLi16ELi17EEEENST_IJLi18EEEES17_S18_S1A_S19_NST_IJLi23ELi24EEEENST_IJLi25EEEEEEENST_IJLi23ELi25ELi24EEEElEENSB_INS5_IJSR_SP_SP_SR_SG_EEENS5_IJSU_SV_SW_SY_SX_EEENS5_IJNST_IJLi1ELi2EEEESX_SY_NST_IJLi5ELi6EEEES11_EEENST_IJLi5ELi7ELi6EEEElEENSB_INS5_IJSK_SP_SP_EEENS5_IJSU_SV_SW_EEENS5_IJS1P_SX_SY_EEENST_IJLi3ELi4EEEElEELi128ELi128ELi16ELi2ELi4ELi4ELi1ENST_IJLi8ELi2EEEES1Z_NST_IJLi8ELi1ELi1ELi2EEEENST_IJLi2ELi1ELi128ELi1EEEENST_IJLi1ELi2ELi0ELi3EEEES22_NST_IJLi4ELi1ELi1ELi2EEEES22_NST_IJLi1ELi1ELi1ELi2EEEES20_S21_S22_S22_S23_S22_S24_NST_IJLi0ELi1ELi2ELi3ELi4ELi5EEEELi5ELi4EEEDF16_NS5_IJPKDF16_EEEDF16_S8_S8_S9_NSB_INS5_IJSE_SG_SI_SI_SI_SG_SG_SK_SK_SK_SG_SN_SN_SP_SP_SR_SG_SG_NSQ_INS5_IJiNS_17integral_constantIiLi128EEEEEELb0EEENSF_INS2A_IiLi2EEEEEEEENS5_IJSU_SV_SW_SX_SY_SZ_S10_S11_S12_S13_S14_S15_S16_S17_S18_S19_S1A_NST_IJLi23EEEES1J_NST_IJLi24EEEEEEENS5_IJS1C_S10_S11_S12_S13_S14_S1D_S1E_S1F_S1G_S1H_S17_S18_S1A_S19_S1I_S1J_NST_IJLi26EEEENST_IJLi27ELi28EEEENST_IJLi29EEEEEEENST_IJLi26ELi27ELi28ELi29EEEElEENSB_INS5_IJSR_SP_SP_SR_SG_SG_S2D_S2F_EEENS5_IJSU_SV_SW_SY_SX_SZ_S11_S10_EEENS5_IJS1P_SX_SY_S1Q_S11_S12_NST_IJLi9ELi10EEEES1D_EEENST_IJLi8ELi9ELi10ELi11EEEElEENS5_IJNSB_INS5_IJSK_SP_SP_NSQ_INS5_IJiS2E_NS2A_IiLi64EEEEEELb0EEES2Y_EEENS5_IJSU_SV_SW_SX_SY_EEENS5_IJS1P_SX_SY_NST_IJLi5ELi6ELi7EEEENST_IJLi8ELi9ELi10EEEEEEENST_IJLi5ELi6ELi7ELi8ELi9ELi10EEEElEEEEES35_NS_31BlockToCTileMap_M00_N00_M01_N01ILi128ELi128ES1Y_Lb0EEENS1_30ComputePtrOffsetOfStridedBatchILi1ELi1ELi1EvEELb0ELb1EEEvPKT0_S3D_T1_PT2_T3_T4_T5_iT6_T7_T8_T9_T10_T11_
		.amdhsa_group_segment_fixed_size 32768
		.amdhsa_private_segment_fixed_size 0
		.amdhsa_kernarg_size 1024
		.amdhsa_user_sgpr_count 6
		.amdhsa_user_sgpr_private_segment_buffer 1
		.amdhsa_user_sgpr_dispatch_ptr 0
		.amdhsa_user_sgpr_queue_ptr 0
		.amdhsa_user_sgpr_kernarg_segment_ptr 1
		.amdhsa_user_sgpr_dispatch_id 0
		.amdhsa_user_sgpr_flat_scratch_init 0
		.amdhsa_user_sgpr_private_segment_size 0
		.amdhsa_uses_dynamic_stack 0
		.amdhsa_system_sgpr_private_segment_wavefront_offset 0
		.amdhsa_system_sgpr_workgroup_id_x 1
		.amdhsa_system_sgpr_workgroup_id_y 0
		.amdhsa_system_sgpr_workgroup_id_z 0
		.amdhsa_system_sgpr_workgroup_info 0
		.amdhsa_system_vgpr_workitem_id 0
		.amdhsa_next_free_vgpr 125
		.amdhsa_next_free_sgpr 98
		.amdhsa_reserve_vcc 1
		.amdhsa_reserve_flat_scratch 0
		.amdhsa_float_round_mode_32 0
		.amdhsa_float_round_mode_16_64 0
		.amdhsa_float_denorm_mode_32 3
		.amdhsa_float_denorm_mode_16_64 3
		.amdhsa_dx10_clamp 1
		.amdhsa_ieee_mode 1
		.amdhsa_fp16_overflow 0
		.amdhsa_exception_fp_ieee_invalid_op 0
		.amdhsa_exception_fp_denorm_src 0
		.amdhsa_exception_fp_ieee_div_zero 0
		.amdhsa_exception_fp_ieee_overflow 0
		.amdhsa_exception_fp_ieee_underflow 0
		.amdhsa_exception_fp_ieee_inexact 0
		.amdhsa_exception_int_div_zero 0
	.end_amdhsa_kernel
	.section	.text._ZN2ck16tensor_operation6device12_GLOBAL__N_137kernel_grouped_conv_fwd_dl_multiple_dINS_32GridwiseGemmDlMultipleD_km_kn_mnILi256EDF16_fNS_5TupleIJDF16_EEEDF16_NS0_12element_wise11PassThroughES8_NS7_7AddReluELNS_25InMemoryDataOperationEnumE0ENS_16TensorDescriptorINS5_IJNS_5EmbedINS5_IJiiiiiEEESD_Lb0EEENS_11PassThroughIiEENS_3PadIiiiLb0EEESI_SI_SG_SG_NSC_INS5_IJiiEEESJ_Lb0EEESK_SK_SG_NS_23Merge_v2_magic_divisionINS5_IJiiiiEEEEESN_NS_8RightPadIiiLb0EEESP_NS_7UnMergeISJ_Lb0EEESG_EEENS5_IJNS_8SequenceIJLi0EEEENST_IJLi1EEEENST_IJLi2EEEENST_IJLi3EEEENST_IJLi4EEEENST_IJLi5EEEENST_IJLi6EEEENST_IJLi7EEEENST_IJLi8EEEENST_IJLi9EEEENST_IJLi10EEEENST_IJLi11ELi13ELi15ELi17EEEENST_IJLi12ELi14ELi16ELi18EEEENST_IJLi19EEEENST_IJLi20EEEENST_IJLi22EEEENST_IJLi21EEEEEEENS5_IJNST_IJLi1ELi2ELi3ELi4ELi5EEEES10_S11_S12_S13_S14_NST_IJLi11EEEENST_IJLi12ELi13EEEENST_IJLi14ELi15EEEENST_IJLi16ELi17EEEENST_IJLi18EEEES17_S18_S1A_S19_NST_IJLi23ELi24EEEENST_IJLi25EEEEEEENST_IJLi23ELi25ELi24EEEElEENSB_INS5_IJSR_SP_SP_SR_SG_EEENS5_IJSU_SV_SW_SY_SX_EEENS5_IJNST_IJLi1ELi2EEEESX_SY_NST_IJLi5ELi6EEEES11_EEENST_IJLi5ELi7ELi6EEEElEENSB_INS5_IJSK_SP_SP_EEENS5_IJSU_SV_SW_EEENS5_IJS1P_SX_SY_EEENST_IJLi3ELi4EEEElEELi128ELi128ELi16ELi2ELi4ELi4ELi1ENST_IJLi8ELi2EEEES1Z_NST_IJLi8ELi1ELi1ELi2EEEENST_IJLi2ELi1ELi128ELi1EEEENST_IJLi1ELi2ELi0ELi3EEEES22_NST_IJLi4ELi1ELi1ELi2EEEES22_NST_IJLi1ELi1ELi1ELi2EEEES20_S21_S22_S22_S23_S22_S24_NST_IJLi0ELi1ELi2ELi3ELi4ELi5EEEELi5ELi4EEEDF16_NS5_IJPKDF16_EEEDF16_S8_S8_S9_NSB_INS5_IJSE_SG_SI_SI_SI_SG_SG_SK_SK_SK_SG_SN_SN_SP_SP_SR_SG_SG_NSQ_INS5_IJiNS_17integral_constantIiLi128EEEEEELb0EEENSF_INS2A_IiLi2EEEEEEEENS5_IJSU_SV_SW_SX_SY_SZ_S10_S11_S12_S13_S14_S15_S16_S17_S18_S19_S1A_NST_IJLi23EEEES1J_NST_IJLi24EEEEEEENS5_IJS1C_S10_S11_S12_S13_S14_S1D_S1E_S1F_S1G_S1H_S17_S18_S1A_S19_S1I_S1J_NST_IJLi26EEEENST_IJLi27ELi28EEEENST_IJLi29EEEEEEENST_IJLi26ELi27ELi28ELi29EEEElEENSB_INS5_IJSR_SP_SP_SR_SG_SG_S2D_S2F_EEENS5_IJSU_SV_SW_SY_SX_SZ_S11_S10_EEENS5_IJS1P_SX_SY_S1Q_S11_S12_NST_IJLi9ELi10EEEES1D_EEENST_IJLi8ELi9ELi10ELi11EEEElEENS5_IJNSB_INS5_IJSK_SP_SP_NSQ_INS5_IJiS2E_NS2A_IiLi64EEEEEELb0EEES2Y_EEENS5_IJSU_SV_SW_SX_SY_EEENS5_IJS1P_SX_SY_NST_IJLi5ELi6ELi7EEEENST_IJLi8ELi9ELi10EEEEEEENST_IJLi5ELi6ELi7ELi8ELi9ELi10EEEElEEEEES35_NS_31BlockToCTileMap_M00_N00_M01_N01ILi128ELi128ES1Y_Lb0EEENS1_30ComputePtrOffsetOfStridedBatchILi1ELi1ELi1EvEELb0ELb1EEEvPKT0_S3D_T1_PT2_T3_T4_T5_iT6_T7_T8_T9_T10_T11_,"axG",@progbits,_ZN2ck16tensor_operation6device12_GLOBAL__N_137kernel_grouped_conv_fwd_dl_multiple_dINS_32GridwiseGemmDlMultipleD_km_kn_mnILi256EDF16_fNS_5TupleIJDF16_EEEDF16_NS0_12element_wise11PassThroughES8_NS7_7AddReluELNS_25InMemoryDataOperationEnumE0ENS_16TensorDescriptorINS5_IJNS_5EmbedINS5_IJiiiiiEEESD_Lb0EEENS_11PassThroughIiEENS_3PadIiiiLb0EEESI_SI_SG_SG_NSC_INS5_IJiiEEESJ_Lb0EEESK_SK_SG_NS_23Merge_v2_magic_divisionINS5_IJiiiiEEEEESN_NS_8RightPadIiiLb0EEESP_NS_7UnMergeISJ_Lb0EEESG_EEENS5_IJNS_8SequenceIJLi0EEEENST_IJLi1EEEENST_IJLi2EEEENST_IJLi3EEEENST_IJLi4EEEENST_IJLi5EEEENST_IJLi6EEEENST_IJLi7EEEENST_IJLi8EEEENST_IJLi9EEEENST_IJLi10EEEENST_IJLi11ELi13ELi15ELi17EEEENST_IJLi12ELi14ELi16ELi18EEEENST_IJLi19EEEENST_IJLi20EEEENST_IJLi22EEEENST_IJLi21EEEEEEENS5_IJNST_IJLi1ELi2ELi3ELi4ELi5EEEES10_S11_S12_S13_S14_NST_IJLi11EEEENST_IJLi12ELi13EEEENST_IJLi14ELi15EEEENST_IJLi16ELi17EEEENST_IJLi18EEEES17_S18_S1A_S19_NST_IJLi23ELi24EEEENST_IJLi25EEEEEEENST_IJLi23ELi25ELi24EEEElEENSB_INS5_IJSR_SP_SP_SR_SG_EEENS5_IJSU_SV_SW_SY_SX_EEENS5_IJNST_IJLi1ELi2EEEESX_SY_NST_IJLi5ELi6EEEES11_EEENST_IJLi5ELi7ELi6EEEElEENSB_INS5_IJSK_SP_SP_EEENS5_IJSU_SV_SW_EEENS5_IJS1P_SX_SY_EEENST_IJLi3ELi4EEEElEELi128ELi128ELi16ELi2ELi4ELi4ELi1ENST_IJLi8ELi2EEEES1Z_NST_IJLi8ELi1ELi1ELi2EEEENST_IJLi2ELi1ELi128ELi1EEEENST_IJLi1ELi2ELi0ELi3EEEES22_NST_IJLi4ELi1ELi1ELi2EEEES22_NST_IJLi1ELi1ELi1ELi2EEEES20_S21_S22_S22_S23_S22_S24_NST_IJLi0ELi1ELi2ELi3ELi4ELi5EEEELi5ELi4EEEDF16_NS5_IJPKDF16_EEEDF16_S8_S8_S9_NSB_INS5_IJSE_SG_SI_SI_SI_SG_SG_SK_SK_SK_SG_SN_SN_SP_SP_SR_SG_SG_NSQ_INS5_IJiNS_17integral_constantIiLi128EEEEEELb0EEENSF_INS2A_IiLi2EEEEEEEENS5_IJSU_SV_SW_SX_SY_SZ_S10_S11_S12_S13_S14_S15_S16_S17_S18_S19_S1A_NST_IJLi23EEEES1J_NST_IJLi24EEEEEEENS5_IJS1C_S10_S11_S12_S13_S14_S1D_S1E_S1F_S1G_S1H_S17_S18_S1A_S19_S1I_S1J_NST_IJLi26EEEENST_IJLi27ELi28EEEENST_IJLi29EEEEEEENST_IJLi26ELi27ELi28ELi29EEEElEENSB_INS5_IJSR_SP_SP_SR_SG_SG_S2D_S2F_EEENS5_IJSU_SV_SW_SY_SX_SZ_S11_S10_EEENS5_IJS1P_SX_SY_S1Q_S11_S12_NST_IJLi9ELi10EEEES1D_EEENST_IJLi8ELi9ELi10ELi11EEEElEENS5_IJNSB_INS5_IJSK_SP_SP_NSQ_INS5_IJiS2E_NS2A_IiLi64EEEEEELb0EEES2Y_EEENS5_IJSU_SV_SW_SX_SY_EEENS5_IJS1P_SX_SY_NST_IJLi5ELi6ELi7EEEENST_IJLi8ELi9ELi10EEEEEEENST_IJLi5ELi6ELi7ELi8ELi9ELi10EEEElEEEEES35_NS_31BlockToCTileMap_M00_N00_M01_N01ILi128ELi128ES1Y_Lb0EEENS1_30ComputePtrOffsetOfStridedBatchILi1ELi1ELi1EvEELb0ELb1EEEvPKT0_S3D_T1_PT2_T3_T4_T5_iT6_T7_T8_T9_T10_T11_,comdat
.Lfunc_end11:
	.size	_ZN2ck16tensor_operation6device12_GLOBAL__N_137kernel_grouped_conv_fwd_dl_multiple_dINS_32GridwiseGemmDlMultipleD_km_kn_mnILi256EDF16_fNS_5TupleIJDF16_EEEDF16_NS0_12element_wise11PassThroughES8_NS7_7AddReluELNS_25InMemoryDataOperationEnumE0ENS_16TensorDescriptorINS5_IJNS_5EmbedINS5_IJiiiiiEEESD_Lb0EEENS_11PassThroughIiEENS_3PadIiiiLb0EEESI_SI_SG_SG_NSC_INS5_IJiiEEESJ_Lb0EEESK_SK_SG_NS_23Merge_v2_magic_divisionINS5_IJiiiiEEEEESN_NS_8RightPadIiiLb0EEESP_NS_7UnMergeISJ_Lb0EEESG_EEENS5_IJNS_8SequenceIJLi0EEEENST_IJLi1EEEENST_IJLi2EEEENST_IJLi3EEEENST_IJLi4EEEENST_IJLi5EEEENST_IJLi6EEEENST_IJLi7EEEENST_IJLi8EEEENST_IJLi9EEEENST_IJLi10EEEENST_IJLi11ELi13ELi15ELi17EEEENST_IJLi12ELi14ELi16ELi18EEEENST_IJLi19EEEENST_IJLi20EEEENST_IJLi22EEEENST_IJLi21EEEEEEENS5_IJNST_IJLi1ELi2ELi3ELi4ELi5EEEES10_S11_S12_S13_S14_NST_IJLi11EEEENST_IJLi12ELi13EEEENST_IJLi14ELi15EEEENST_IJLi16ELi17EEEENST_IJLi18EEEES17_S18_S1A_S19_NST_IJLi23ELi24EEEENST_IJLi25EEEEEEENST_IJLi23ELi25ELi24EEEElEENSB_INS5_IJSR_SP_SP_SR_SG_EEENS5_IJSU_SV_SW_SY_SX_EEENS5_IJNST_IJLi1ELi2EEEESX_SY_NST_IJLi5ELi6EEEES11_EEENST_IJLi5ELi7ELi6EEEElEENSB_INS5_IJSK_SP_SP_EEENS5_IJSU_SV_SW_EEENS5_IJS1P_SX_SY_EEENST_IJLi3ELi4EEEElEELi128ELi128ELi16ELi2ELi4ELi4ELi1ENST_IJLi8ELi2EEEES1Z_NST_IJLi8ELi1ELi1ELi2EEEENST_IJLi2ELi1ELi128ELi1EEEENST_IJLi1ELi2ELi0ELi3EEEES22_NST_IJLi4ELi1ELi1ELi2EEEES22_NST_IJLi1ELi1ELi1ELi2EEEES20_S21_S22_S22_S23_S22_S24_NST_IJLi0ELi1ELi2ELi3ELi4ELi5EEEELi5ELi4EEEDF16_NS5_IJPKDF16_EEEDF16_S8_S8_S9_NSB_INS5_IJSE_SG_SI_SI_SI_SG_SG_SK_SK_SK_SG_SN_SN_SP_SP_SR_SG_SG_NSQ_INS5_IJiNS_17integral_constantIiLi128EEEEEELb0EEENSF_INS2A_IiLi2EEEEEEEENS5_IJSU_SV_SW_SX_SY_SZ_S10_S11_S12_S13_S14_S15_S16_S17_S18_S19_S1A_NST_IJLi23EEEES1J_NST_IJLi24EEEEEEENS5_IJS1C_S10_S11_S12_S13_S14_S1D_S1E_S1F_S1G_S1H_S17_S18_S1A_S19_S1I_S1J_NST_IJLi26EEEENST_IJLi27ELi28EEEENST_IJLi29EEEEEEENST_IJLi26ELi27ELi28ELi29EEEElEENSB_INS5_IJSR_SP_SP_SR_SG_SG_S2D_S2F_EEENS5_IJSU_SV_SW_SY_SX_SZ_S11_S10_EEENS5_IJS1P_SX_SY_S1Q_S11_S12_NST_IJLi9ELi10EEEES1D_EEENST_IJLi8ELi9ELi10ELi11EEEElEENS5_IJNSB_INS5_IJSK_SP_SP_NSQ_INS5_IJiS2E_NS2A_IiLi64EEEEEELb0EEES2Y_EEENS5_IJSU_SV_SW_SX_SY_EEENS5_IJS1P_SX_SY_NST_IJLi5ELi6ELi7EEEENST_IJLi8ELi9ELi10EEEEEEENST_IJLi5ELi6ELi7ELi8ELi9ELi10EEEElEEEEES35_NS_31BlockToCTileMap_M00_N00_M01_N01ILi128ELi128ES1Y_Lb0EEENS1_30ComputePtrOffsetOfStridedBatchILi1ELi1ELi1EvEELb0ELb1EEEvPKT0_S3D_T1_PT2_T3_T4_T5_iT6_T7_T8_T9_T10_T11_, .Lfunc_end11-_ZN2ck16tensor_operation6device12_GLOBAL__N_137kernel_grouped_conv_fwd_dl_multiple_dINS_32GridwiseGemmDlMultipleD_km_kn_mnILi256EDF16_fNS_5TupleIJDF16_EEEDF16_NS0_12element_wise11PassThroughES8_NS7_7AddReluELNS_25InMemoryDataOperationEnumE0ENS_16TensorDescriptorINS5_IJNS_5EmbedINS5_IJiiiiiEEESD_Lb0EEENS_11PassThroughIiEENS_3PadIiiiLb0EEESI_SI_SG_SG_NSC_INS5_IJiiEEESJ_Lb0EEESK_SK_SG_NS_23Merge_v2_magic_divisionINS5_IJiiiiEEEEESN_NS_8RightPadIiiLb0EEESP_NS_7UnMergeISJ_Lb0EEESG_EEENS5_IJNS_8SequenceIJLi0EEEENST_IJLi1EEEENST_IJLi2EEEENST_IJLi3EEEENST_IJLi4EEEENST_IJLi5EEEENST_IJLi6EEEENST_IJLi7EEEENST_IJLi8EEEENST_IJLi9EEEENST_IJLi10EEEENST_IJLi11ELi13ELi15ELi17EEEENST_IJLi12ELi14ELi16ELi18EEEENST_IJLi19EEEENST_IJLi20EEEENST_IJLi22EEEENST_IJLi21EEEEEEENS5_IJNST_IJLi1ELi2ELi3ELi4ELi5EEEES10_S11_S12_S13_S14_NST_IJLi11EEEENST_IJLi12ELi13EEEENST_IJLi14ELi15EEEENST_IJLi16ELi17EEEENST_IJLi18EEEES17_S18_S1A_S19_NST_IJLi23ELi24EEEENST_IJLi25EEEEEEENST_IJLi23ELi25ELi24EEEElEENSB_INS5_IJSR_SP_SP_SR_SG_EEENS5_IJSU_SV_SW_SY_SX_EEENS5_IJNST_IJLi1ELi2EEEESX_SY_NST_IJLi5ELi6EEEES11_EEENST_IJLi5ELi7ELi6EEEElEENSB_INS5_IJSK_SP_SP_EEENS5_IJSU_SV_SW_EEENS5_IJS1P_SX_SY_EEENST_IJLi3ELi4EEEElEELi128ELi128ELi16ELi2ELi4ELi4ELi1ENST_IJLi8ELi2EEEES1Z_NST_IJLi8ELi1ELi1ELi2EEEENST_IJLi2ELi1ELi128ELi1EEEENST_IJLi1ELi2ELi0ELi3EEEES22_NST_IJLi4ELi1ELi1ELi2EEEES22_NST_IJLi1ELi1ELi1ELi2EEEES20_S21_S22_S22_S23_S22_S24_NST_IJLi0ELi1ELi2ELi3ELi4ELi5EEEELi5ELi4EEEDF16_NS5_IJPKDF16_EEEDF16_S8_S8_S9_NSB_INS5_IJSE_SG_SI_SI_SI_SG_SG_SK_SK_SK_SG_SN_SN_SP_SP_SR_SG_SG_NSQ_INS5_IJiNS_17integral_constantIiLi128EEEEEELb0EEENSF_INS2A_IiLi2EEEEEEEENS5_IJSU_SV_SW_SX_SY_SZ_S10_S11_S12_S13_S14_S15_S16_S17_S18_S19_S1A_NST_IJLi23EEEES1J_NST_IJLi24EEEEEEENS5_IJS1C_S10_S11_S12_S13_S14_S1D_S1E_S1F_S1G_S1H_S17_S18_S1A_S19_S1I_S1J_NST_IJLi26EEEENST_IJLi27ELi28EEEENST_IJLi29EEEEEEENST_IJLi26ELi27ELi28ELi29EEEElEENSB_INS5_IJSR_SP_SP_SR_SG_SG_S2D_S2F_EEENS5_IJSU_SV_SW_SY_SX_SZ_S11_S10_EEENS5_IJS1P_SX_SY_S1Q_S11_S12_NST_IJLi9ELi10EEEES1D_EEENST_IJLi8ELi9ELi10ELi11EEEElEENS5_IJNSB_INS5_IJSK_SP_SP_NSQ_INS5_IJiS2E_NS2A_IiLi64EEEEEELb0EEES2Y_EEENS5_IJSU_SV_SW_SX_SY_EEENS5_IJS1P_SX_SY_NST_IJLi5ELi6ELi7EEEENST_IJLi8ELi9ELi10EEEEEEENST_IJLi5ELi6ELi7ELi8ELi9ELi10EEEElEEEEES35_NS_31BlockToCTileMap_M00_N00_M01_N01ILi128ELi128ES1Y_Lb0EEENS1_30ComputePtrOffsetOfStridedBatchILi1ELi1ELi1EvEELb0ELb1EEEvPKT0_S3D_T1_PT2_T3_T4_T5_iT6_T7_T8_T9_T10_T11_
                                        ; -- End function
	.set _ZN2ck16tensor_operation6device12_GLOBAL__N_137kernel_grouped_conv_fwd_dl_multiple_dINS_32GridwiseGemmDlMultipleD_km_kn_mnILi256EDF16_fNS_5TupleIJDF16_EEEDF16_NS0_12element_wise11PassThroughES8_NS7_7AddReluELNS_25InMemoryDataOperationEnumE0ENS_16TensorDescriptorINS5_IJNS_5EmbedINS5_IJiiiiiEEESD_Lb0EEENS_11PassThroughIiEENS_3PadIiiiLb0EEESI_SI_SG_SG_NSC_INS5_IJiiEEESJ_Lb0EEESK_SK_SG_NS_23Merge_v2_magic_divisionINS5_IJiiiiEEEEESN_NS_8RightPadIiiLb0EEESP_NS_7UnMergeISJ_Lb0EEESG_EEENS5_IJNS_8SequenceIJLi0EEEENST_IJLi1EEEENST_IJLi2EEEENST_IJLi3EEEENST_IJLi4EEEENST_IJLi5EEEENST_IJLi6EEEENST_IJLi7EEEENST_IJLi8EEEENST_IJLi9EEEENST_IJLi10EEEENST_IJLi11ELi13ELi15ELi17EEEENST_IJLi12ELi14ELi16ELi18EEEENST_IJLi19EEEENST_IJLi20EEEENST_IJLi22EEEENST_IJLi21EEEEEEENS5_IJNST_IJLi1ELi2ELi3ELi4ELi5EEEES10_S11_S12_S13_S14_NST_IJLi11EEEENST_IJLi12ELi13EEEENST_IJLi14ELi15EEEENST_IJLi16ELi17EEEENST_IJLi18EEEES17_S18_S1A_S19_NST_IJLi23ELi24EEEENST_IJLi25EEEEEEENST_IJLi23ELi25ELi24EEEElEENSB_INS5_IJSR_SP_SP_SR_SG_EEENS5_IJSU_SV_SW_SY_SX_EEENS5_IJNST_IJLi1ELi2EEEESX_SY_NST_IJLi5ELi6EEEES11_EEENST_IJLi5ELi7ELi6EEEElEENSB_INS5_IJSK_SP_SP_EEENS5_IJSU_SV_SW_EEENS5_IJS1P_SX_SY_EEENST_IJLi3ELi4EEEElEELi128ELi128ELi16ELi2ELi4ELi4ELi1ENST_IJLi8ELi2EEEES1Z_NST_IJLi8ELi1ELi1ELi2EEEENST_IJLi2ELi1ELi128ELi1EEEENST_IJLi1ELi2ELi0ELi3EEEES22_NST_IJLi4ELi1ELi1ELi2EEEES22_NST_IJLi1ELi1ELi1ELi2EEEES20_S21_S22_S22_S23_S22_S24_NST_IJLi0ELi1ELi2ELi3ELi4ELi5EEEELi5ELi4EEEDF16_NS5_IJPKDF16_EEEDF16_S8_S8_S9_NSB_INS5_IJSE_SG_SI_SI_SI_SG_SG_SK_SK_SK_SG_SN_SN_SP_SP_SR_SG_SG_NSQ_INS5_IJiNS_17integral_constantIiLi128EEEEEELb0EEENSF_INS2A_IiLi2EEEEEEEENS5_IJSU_SV_SW_SX_SY_SZ_S10_S11_S12_S13_S14_S15_S16_S17_S18_S19_S1A_NST_IJLi23EEEES1J_NST_IJLi24EEEEEEENS5_IJS1C_S10_S11_S12_S13_S14_S1D_S1E_S1F_S1G_S1H_S17_S18_S1A_S19_S1I_S1J_NST_IJLi26EEEENST_IJLi27ELi28EEEENST_IJLi29EEEEEEENST_IJLi26ELi27ELi28ELi29EEEElEENSB_INS5_IJSR_SP_SP_SR_SG_SG_S2D_S2F_EEENS5_IJSU_SV_SW_SY_SX_SZ_S11_S10_EEENS5_IJS1P_SX_SY_S1Q_S11_S12_NST_IJLi9ELi10EEEES1D_EEENST_IJLi8ELi9ELi10ELi11EEEElEENS5_IJNSB_INS5_IJSK_SP_SP_NSQ_INS5_IJiS2E_NS2A_IiLi64EEEEEELb0EEES2Y_EEENS5_IJSU_SV_SW_SX_SY_EEENS5_IJS1P_SX_SY_NST_IJLi5ELi6ELi7EEEENST_IJLi8ELi9ELi10EEEEEEENST_IJLi5ELi6ELi7ELi8ELi9ELi10EEEElEEEEES35_NS_31BlockToCTileMap_M00_N00_M01_N01ILi128ELi128ES1Y_Lb0EEENS1_30ComputePtrOffsetOfStridedBatchILi1ELi1ELi1EvEELb0ELb1EEEvPKT0_S3D_T1_PT2_T3_T4_T5_iT6_T7_T8_T9_T10_T11_.num_vgpr, 125
	.set _ZN2ck16tensor_operation6device12_GLOBAL__N_137kernel_grouped_conv_fwd_dl_multiple_dINS_32GridwiseGemmDlMultipleD_km_kn_mnILi256EDF16_fNS_5TupleIJDF16_EEEDF16_NS0_12element_wise11PassThroughES8_NS7_7AddReluELNS_25InMemoryDataOperationEnumE0ENS_16TensorDescriptorINS5_IJNS_5EmbedINS5_IJiiiiiEEESD_Lb0EEENS_11PassThroughIiEENS_3PadIiiiLb0EEESI_SI_SG_SG_NSC_INS5_IJiiEEESJ_Lb0EEESK_SK_SG_NS_23Merge_v2_magic_divisionINS5_IJiiiiEEEEESN_NS_8RightPadIiiLb0EEESP_NS_7UnMergeISJ_Lb0EEESG_EEENS5_IJNS_8SequenceIJLi0EEEENST_IJLi1EEEENST_IJLi2EEEENST_IJLi3EEEENST_IJLi4EEEENST_IJLi5EEEENST_IJLi6EEEENST_IJLi7EEEENST_IJLi8EEEENST_IJLi9EEEENST_IJLi10EEEENST_IJLi11ELi13ELi15ELi17EEEENST_IJLi12ELi14ELi16ELi18EEEENST_IJLi19EEEENST_IJLi20EEEENST_IJLi22EEEENST_IJLi21EEEEEEENS5_IJNST_IJLi1ELi2ELi3ELi4ELi5EEEES10_S11_S12_S13_S14_NST_IJLi11EEEENST_IJLi12ELi13EEEENST_IJLi14ELi15EEEENST_IJLi16ELi17EEEENST_IJLi18EEEES17_S18_S1A_S19_NST_IJLi23ELi24EEEENST_IJLi25EEEEEEENST_IJLi23ELi25ELi24EEEElEENSB_INS5_IJSR_SP_SP_SR_SG_EEENS5_IJSU_SV_SW_SY_SX_EEENS5_IJNST_IJLi1ELi2EEEESX_SY_NST_IJLi5ELi6EEEES11_EEENST_IJLi5ELi7ELi6EEEElEENSB_INS5_IJSK_SP_SP_EEENS5_IJSU_SV_SW_EEENS5_IJS1P_SX_SY_EEENST_IJLi3ELi4EEEElEELi128ELi128ELi16ELi2ELi4ELi4ELi1ENST_IJLi8ELi2EEEES1Z_NST_IJLi8ELi1ELi1ELi2EEEENST_IJLi2ELi1ELi128ELi1EEEENST_IJLi1ELi2ELi0ELi3EEEES22_NST_IJLi4ELi1ELi1ELi2EEEES22_NST_IJLi1ELi1ELi1ELi2EEEES20_S21_S22_S22_S23_S22_S24_NST_IJLi0ELi1ELi2ELi3ELi4ELi5EEEELi5ELi4EEEDF16_NS5_IJPKDF16_EEEDF16_S8_S8_S9_NSB_INS5_IJSE_SG_SI_SI_SI_SG_SG_SK_SK_SK_SG_SN_SN_SP_SP_SR_SG_SG_NSQ_INS5_IJiNS_17integral_constantIiLi128EEEEEELb0EEENSF_INS2A_IiLi2EEEEEEEENS5_IJSU_SV_SW_SX_SY_SZ_S10_S11_S12_S13_S14_S15_S16_S17_S18_S19_S1A_NST_IJLi23EEEES1J_NST_IJLi24EEEEEEENS5_IJS1C_S10_S11_S12_S13_S14_S1D_S1E_S1F_S1G_S1H_S17_S18_S1A_S19_S1I_S1J_NST_IJLi26EEEENST_IJLi27ELi28EEEENST_IJLi29EEEEEEENST_IJLi26ELi27ELi28ELi29EEEElEENSB_INS5_IJSR_SP_SP_SR_SG_SG_S2D_S2F_EEENS5_IJSU_SV_SW_SY_SX_SZ_S11_S10_EEENS5_IJS1P_SX_SY_S1Q_S11_S12_NST_IJLi9ELi10EEEES1D_EEENST_IJLi8ELi9ELi10ELi11EEEElEENS5_IJNSB_INS5_IJSK_SP_SP_NSQ_INS5_IJiS2E_NS2A_IiLi64EEEEEELb0EEES2Y_EEENS5_IJSU_SV_SW_SX_SY_EEENS5_IJS1P_SX_SY_NST_IJLi5ELi6ELi7EEEENST_IJLi8ELi9ELi10EEEEEEENST_IJLi5ELi6ELi7ELi8ELi9ELi10EEEElEEEEES35_NS_31BlockToCTileMap_M00_N00_M01_N01ILi128ELi128ES1Y_Lb0EEENS1_30ComputePtrOffsetOfStridedBatchILi1ELi1ELi1EvEELb0ELb1EEEvPKT0_S3D_T1_PT2_T3_T4_T5_iT6_T7_T8_T9_T10_T11_.num_agpr, 0
	.set _ZN2ck16tensor_operation6device12_GLOBAL__N_137kernel_grouped_conv_fwd_dl_multiple_dINS_32GridwiseGemmDlMultipleD_km_kn_mnILi256EDF16_fNS_5TupleIJDF16_EEEDF16_NS0_12element_wise11PassThroughES8_NS7_7AddReluELNS_25InMemoryDataOperationEnumE0ENS_16TensorDescriptorINS5_IJNS_5EmbedINS5_IJiiiiiEEESD_Lb0EEENS_11PassThroughIiEENS_3PadIiiiLb0EEESI_SI_SG_SG_NSC_INS5_IJiiEEESJ_Lb0EEESK_SK_SG_NS_23Merge_v2_magic_divisionINS5_IJiiiiEEEEESN_NS_8RightPadIiiLb0EEESP_NS_7UnMergeISJ_Lb0EEESG_EEENS5_IJNS_8SequenceIJLi0EEEENST_IJLi1EEEENST_IJLi2EEEENST_IJLi3EEEENST_IJLi4EEEENST_IJLi5EEEENST_IJLi6EEEENST_IJLi7EEEENST_IJLi8EEEENST_IJLi9EEEENST_IJLi10EEEENST_IJLi11ELi13ELi15ELi17EEEENST_IJLi12ELi14ELi16ELi18EEEENST_IJLi19EEEENST_IJLi20EEEENST_IJLi22EEEENST_IJLi21EEEEEEENS5_IJNST_IJLi1ELi2ELi3ELi4ELi5EEEES10_S11_S12_S13_S14_NST_IJLi11EEEENST_IJLi12ELi13EEEENST_IJLi14ELi15EEEENST_IJLi16ELi17EEEENST_IJLi18EEEES17_S18_S1A_S19_NST_IJLi23ELi24EEEENST_IJLi25EEEEEEENST_IJLi23ELi25ELi24EEEElEENSB_INS5_IJSR_SP_SP_SR_SG_EEENS5_IJSU_SV_SW_SY_SX_EEENS5_IJNST_IJLi1ELi2EEEESX_SY_NST_IJLi5ELi6EEEES11_EEENST_IJLi5ELi7ELi6EEEElEENSB_INS5_IJSK_SP_SP_EEENS5_IJSU_SV_SW_EEENS5_IJS1P_SX_SY_EEENST_IJLi3ELi4EEEElEELi128ELi128ELi16ELi2ELi4ELi4ELi1ENST_IJLi8ELi2EEEES1Z_NST_IJLi8ELi1ELi1ELi2EEEENST_IJLi2ELi1ELi128ELi1EEEENST_IJLi1ELi2ELi0ELi3EEEES22_NST_IJLi4ELi1ELi1ELi2EEEES22_NST_IJLi1ELi1ELi1ELi2EEEES20_S21_S22_S22_S23_S22_S24_NST_IJLi0ELi1ELi2ELi3ELi4ELi5EEEELi5ELi4EEEDF16_NS5_IJPKDF16_EEEDF16_S8_S8_S9_NSB_INS5_IJSE_SG_SI_SI_SI_SG_SG_SK_SK_SK_SG_SN_SN_SP_SP_SR_SG_SG_NSQ_INS5_IJiNS_17integral_constantIiLi128EEEEEELb0EEENSF_INS2A_IiLi2EEEEEEEENS5_IJSU_SV_SW_SX_SY_SZ_S10_S11_S12_S13_S14_S15_S16_S17_S18_S19_S1A_NST_IJLi23EEEES1J_NST_IJLi24EEEEEEENS5_IJS1C_S10_S11_S12_S13_S14_S1D_S1E_S1F_S1G_S1H_S17_S18_S1A_S19_S1I_S1J_NST_IJLi26EEEENST_IJLi27ELi28EEEENST_IJLi29EEEEEEENST_IJLi26ELi27ELi28ELi29EEEElEENSB_INS5_IJSR_SP_SP_SR_SG_SG_S2D_S2F_EEENS5_IJSU_SV_SW_SY_SX_SZ_S11_S10_EEENS5_IJS1P_SX_SY_S1Q_S11_S12_NST_IJLi9ELi10EEEES1D_EEENST_IJLi8ELi9ELi10ELi11EEEElEENS5_IJNSB_INS5_IJSK_SP_SP_NSQ_INS5_IJiS2E_NS2A_IiLi64EEEEEELb0EEES2Y_EEENS5_IJSU_SV_SW_SX_SY_EEENS5_IJS1P_SX_SY_NST_IJLi5ELi6ELi7EEEENST_IJLi8ELi9ELi10EEEEEEENST_IJLi5ELi6ELi7ELi8ELi9ELi10EEEElEEEEES35_NS_31BlockToCTileMap_M00_N00_M01_N01ILi128ELi128ES1Y_Lb0EEENS1_30ComputePtrOffsetOfStridedBatchILi1ELi1ELi1EvEELb0ELb1EEEvPKT0_S3D_T1_PT2_T3_T4_T5_iT6_T7_T8_T9_T10_T11_.numbered_sgpr, 81
	.set _ZN2ck16tensor_operation6device12_GLOBAL__N_137kernel_grouped_conv_fwd_dl_multiple_dINS_32GridwiseGemmDlMultipleD_km_kn_mnILi256EDF16_fNS_5TupleIJDF16_EEEDF16_NS0_12element_wise11PassThroughES8_NS7_7AddReluELNS_25InMemoryDataOperationEnumE0ENS_16TensorDescriptorINS5_IJNS_5EmbedINS5_IJiiiiiEEESD_Lb0EEENS_11PassThroughIiEENS_3PadIiiiLb0EEESI_SI_SG_SG_NSC_INS5_IJiiEEESJ_Lb0EEESK_SK_SG_NS_23Merge_v2_magic_divisionINS5_IJiiiiEEEEESN_NS_8RightPadIiiLb0EEESP_NS_7UnMergeISJ_Lb0EEESG_EEENS5_IJNS_8SequenceIJLi0EEEENST_IJLi1EEEENST_IJLi2EEEENST_IJLi3EEEENST_IJLi4EEEENST_IJLi5EEEENST_IJLi6EEEENST_IJLi7EEEENST_IJLi8EEEENST_IJLi9EEEENST_IJLi10EEEENST_IJLi11ELi13ELi15ELi17EEEENST_IJLi12ELi14ELi16ELi18EEEENST_IJLi19EEEENST_IJLi20EEEENST_IJLi22EEEENST_IJLi21EEEEEEENS5_IJNST_IJLi1ELi2ELi3ELi4ELi5EEEES10_S11_S12_S13_S14_NST_IJLi11EEEENST_IJLi12ELi13EEEENST_IJLi14ELi15EEEENST_IJLi16ELi17EEEENST_IJLi18EEEES17_S18_S1A_S19_NST_IJLi23ELi24EEEENST_IJLi25EEEEEEENST_IJLi23ELi25ELi24EEEElEENSB_INS5_IJSR_SP_SP_SR_SG_EEENS5_IJSU_SV_SW_SY_SX_EEENS5_IJNST_IJLi1ELi2EEEESX_SY_NST_IJLi5ELi6EEEES11_EEENST_IJLi5ELi7ELi6EEEElEENSB_INS5_IJSK_SP_SP_EEENS5_IJSU_SV_SW_EEENS5_IJS1P_SX_SY_EEENST_IJLi3ELi4EEEElEELi128ELi128ELi16ELi2ELi4ELi4ELi1ENST_IJLi8ELi2EEEES1Z_NST_IJLi8ELi1ELi1ELi2EEEENST_IJLi2ELi1ELi128ELi1EEEENST_IJLi1ELi2ELi0ELi3EEEES22_NST_IJLi4ELi1ELi1ELi2EEEES22_NST_IJLi1ELi1ELi1ELi2EEEES20_S21_S22_S22_S23_S22_S24_NST_IJLi0ELi1ELi2ELi3ELi4ELi5EEEELi5ELi4EEEDF16_NS5_IJPKDF16_EEEDF16_S8_S8_S9_NSB_INS5_IJSE_SG_SI_SI_SI_SG_SG_SK_SK_SK_SG_SN_SN_SP_SP_SR_SG_SG_NSQ_INS5_IJiNS_17integral_constantIiLi128EEEEEELb0EEENSF_INS2A_IiLi2EEEEEEEENS5_IJSU_SV_SW_SX_SY_SZ_S10_S11_S12_S13_S14_S15_S16_S17_S18_S19_S1A_NST_IJLi23EEEES1J_NST_IJLi24EEEEEEENS5_IJS1C_S10_S11_S12_S13_S14_S1D_S1E_S1F_S1G_S1H_S17_S18_S1A_S19_S1I_S1J_NST_IJLi26EEEENST_IJLi27ELi28EEEENST_IJLi29EEEEEEENST_IJLi26ELi27ELi28ELi29EEEElEENSB_INS5_IJSR_SP_SP_SR_SG_SG_S2D_S2F_EEENS5_IJSU_SV_SW_SY_SX_SZ_S11_S10_EEENS5_IJS1P_SX_SY_S1Q_S11_S12_NST_IJLi9ELi10EEEES1D_EEENST_IJLi8ELi9ELi10ELi11EEEElEENS5_IJNSB_INS5_IJSK_SP_SP_NSQ_INS5_IJiS2E_NS2A_IiLi64EEEEEELb0EEES2Y_EEENS5_IJSU_SV_SW_SX_SY_EEENS5_IJS1P_SX_SY_NST_IJLi5ELi6ELi7EEEENST_IJLi8ELi9ELi10EEEEEEENST_IJLi5ELi6ELi7ELi8ELi9ELi10EEEElEEEEES35_NS_31BlockToCTileMap_M00_N00_M01_N01ILi128ELi128ES1Y_Lb0EEENS1_30ComputePtrOffsetOfStridedBatchILi1ELi1ELi1EvEELb0ELb1EEEvPKT0_S3D_T1_PT2_T3_T4_T5_iT6_T7_T8_T9_T10_T11_.num_named_barrier, 0
	.set _ZN2ck16tensor_operation6device12_GLOBAL__N_137kernel_grouped_conv_fwd_dl_multiple_dINS_32GridwiseGemmDlMultipleD_km_kn_mnILi256EDF16_fNS_5TupleIJDF16_EEEDF16_NS0_12element_wise11PassThroughES8_NS7_7AddReluELNS_25InMemoryDataOperationEnumE0ENS_16TensorDescriptorINS5_IJNS_5EmbedINS5_IJiiiiiEEESD_Lb0EEENS_11PassThroughIiEENS_3PadIiiiLb0EEESI_SI_SG_SG_NSC_INS5_IJiiEEESJ_Lb0EEESK_SK_SG_NS_23Merge_v2_magic_divisionINS5_IJiiiiEEEEESN_NS_8RightPadIiiLb0EEESP_NS_7UnMergeISJ_Lb0EEESG_EEENS5_IJNS_8SequenceIJLi0EEEENST_IJLi1EEEENST_IJLi2EEEENST_IJLi3EEEENST_IJLi4EEEENST_IJLi5EEEENST_IJLi6EEEENST_IJLi7EEEENST_IJLi8EEEENST_IJLi9EEEENST_IJLi10EEEENST_IJLi11ELi13ELi15ELi17EEEENST_IJLi12ELi14ELi16ELi18EEEENST_IJLi19EEEENST_IJLi20EEEENST_IJLi22EEEENST_IJLi21EEEEEEENS5_IJNST_IJLi1ELi2ELi3ELi4ELi5EEEES10_S11_S12_S13_S14_NST_IJLi11EEEENST_IJLi12ELi13EEEENST_IJLi14ELi15EEEENST_IJLi16ELi17EEEENST_IJLi18EEEES17_S18_S1A_S19_NST_IJLi23ELi24EEEENST_IJLi25EEEEEEENST_IJLi23ELi25ELi24EEEElEENSB_INS5_IJSR_SP_SP_SR_SG_EEENS5_IJSU_SV_SW_SY_SX_EEENS5_IJNST_IJLi1ELi2EEEESX_SY_NST_IJLi5ELi6EEEES11_EEENST_IJLi5ELi7ELi6EEEElEENSB_INS5_IJSK_SP_SP_EEENS5_IJSU_SV_SW_EEENS5_IJS1P_SX_SY_EEENST_IJLi3ELi4EEEElEELi128ELi128ELi16ELi2ELi4ELi4ELi1ENST_IJLi8ELi2EEEES1Z_NST_IJLi8ELi1ELi1ELi2EEEENST_IJLi2ELi1ELi128ELi1EEEENST_IJLi1ELi2ELi0ELi3EEEES22_NST_IJLi4ELi1ELi1ELi2EEEES22_NST_IJLi1ELi1ELi1ELi2EEEES20_S21_S22_S22_S23_S22_S24_NST_IJLi0ELi1ELi2ELi3ELi4ELi5EEEELi5ELi4EEEDF16_NS5_IJPKDF16_EEEDF16_S8_S8_S9_NSB_INS5_IJSE_SG_SI_SI_SI_SG_SG_SK_SK_SK_SG_SN_SN_SP_SP_SR_SG_SG_NSQ_INS5_IJiNS_17integral_constantIiLi128EEEEEELb0EEENSF_INS2A_IiLi2EEEEEEEENS5_IJSU_SV_SW_SX_SY_SZ_S10_S11_S12_S13_S14_S15_S16_S17_S18_S19_S1A_NST_IJLi23EEEES1J_NST_IJLi24EEEEEEENS5_IJS1C_S10_S11_S12_S13_S14_S1D_S1E_S1F_S1G_S1H_S17_S18_S1A_S19_S1I_S1J_NST_IJLi26EEEENST_IJLi27ELi28EEEENST_IJLi29EEEEEEENST_IJLi26ELi27ELi28ELi29EEEElEENSB_INS5_IJSR_SP_SP_SR_SG_SG_S2D_S2F_EEENS5_IJSU_SV_SW_SY_SX_SZ_S11_S10_EEENS5_IJS1P_SX_SY_S1Q_S11_S12_NST_IJLi9ELi10EEEES1D_EEENST_IJLi8ELi9ELi10ELi11EEEElEENS5_IJNSB_INS5_IJSK_SP_SP_NSQ_INS5_IJiS2E_NS2A_IiLi64EEEEEELb0EEES2Y_EEENS5_IJSU_SV_SW_SX_SY_EEENS5_IJS1P_SX_SY_NST_IJLi5ELi6ELi7EEEENST_IJLi8ELi9ELi10EEEEEEENST_IJLi5ELi6ELi7ELi8ELi9ELi10EEEElEEEEES35_NS_31BlockToCTileMap_M00_N00_M01_N01ILi128ELi128ES1Y_Lb0EEENS1_30ComputePtrOffsetOfStridedBatchILi1ELi1ELi1EvEELb0ELb1EEEvPKT0_S3D_T1_PT2_T3_T4_T5_iT6_T7_T8_T9_T10_T11_.private_seg_size, 0
	.set _ZN2ck16tensor_operation6device12_GLOBAL__N_137kernel_grouped_conv_fwd_dl_multiple_dINS_32GridwiseGemmDlMultipleD_km_kn_mnILi256EDF16_fNS_5TupleIJDF16_EEEDF16_NS0_12element_wise11PassThroughES8_NS7_7AddReluELNS_25InMemoryDataOperationEnumE0ENS_16TensorDescriptorINS5_IJNS_5EmbedINS5_IJiiiiiEEESD_Lb0EEENS_11PassThroughIiEENS_3PadIiiiLb0EEESI_SI_SG_SG_NSC_INS5_IJiiEEESJ_Lb0EEESK_SK_SG_NS_23Merge_v2_magic_divisionINS5_IJiiiiEEEEESN_NS_8RightPadIiiLb0EEESP_NS_7UnMergeISJ_Lb0EEESG_EEENS5_IJNS_8SequenceIJLi0EEEENST_IJLi1EEEENST_IJLi2EEEENST_IJLi3EEEENST_IJLi4EEEENST_IJLi5EEEENST_IJLi6EEEENST_IJLi7EEEENST_IJLi8EEEENST_IJLi9EEEENST_IJLi10EEEENST_IJLi11ELi13ELi15ELi17EEEENST_IJLi12ELi14ELi16ELi18EEEENST_IJLi19EEEENST_IJLi20EEEENST_IJLi22EEEENST_IJLi21EEEEEEENS5_IJNST_IJLi1ELi2ELi3ELi4ELi5EEEES10_S11_S12_S13_S14_NST_IJLi11EEEENST_IJLi12ELi13EEEENST_IJLi14ELi15EEEENST_IJLi16ELi17EEEENST_IJLi18EEEES17_S18_S1A_S19_NST_IJLi23ELi24EEEENST_IJLi25EEEEEEENST_IJLi23ELi25ELi24EEEElEENSB_INS5_IJSR_SP_SP_SR_SG_EEENS5_IJSU_SV_SW_SY_SX_EEENS5_IJNST_IJLi1ELi2EEEESX_SY_NST_IJLi5ELi6EEEES11_EEENST_IJLi5ELi7ELi6EEEElEENSB_INS5_IJSK_SP_SP_EEENS5_IJSU_SV_SW_EEENS5_IJS1P_SX_SY_EEENST_IJLi3ELi4EEEElEELi128ELi128ELi16ELi2ELi4ELi4ELi1ENST_IJLi8ELi2EEEES1Z_NST_IJLi8ELi1ELi1ELi2EEEENST_IJLi2ELi1ELi128ELi1EEEENST_IJLi1ELi2ELi0ELi3EEEES22_NST_IJLi4ELi1ELi1ELi2EEEES22_NST_IJLi1ELi1ELi1ELi2EEEES20_S21_S22_S22_S23_S22_S24_NST_IJLi0ELi1ELi2ELi3ELi4ELi5EEEELi5ELi4EEEDF16_NS5_IJPKDF16_EEEDF16_S8_S8_S9_NSB_INS5_IJSE_SG_SI_SI_SI_SG_SG_SK_SK_SK_SG_SN_SN_SP_SP_SR_SG_SG_NSQ_INS5_IJiNS_17integral_constantIiLi128EEEEEELb0EEENSF_INS2A_IiLi2EEEEEEEENS5_IJSU_SV_SW_SX_SY_SZ_S10_S11_S12_S13_S14_S15_S16_S17_S18_S19_S1A_NST_IJLi23EEEES1J_NST_IJLi24EEEEEEENS5_IJS1C_S10_S11_S12_S13_S14_S1D_S1E_S1F_S1G_S1H_S17_S18_S1A_S19_S1I_S1J_NST_IJLi26EEEENST_IJLi27ELi28EEEENST_IJLi29EEEEEEENST_IJLi26ELi27ELi28ELi29EEEElEENSB_INS5_IJSR_SP_SP_SR_SG_SG_S2D_S2F_EEENS5_IJSU_SV_SW_SY_SX_SZ_S11_S10_EEENS5_IJS1P_SX_SY_S1Q_S11_S12_NST_IJLi9ELi10EEEES1D_EEENST_IJLi8ELi9ELi10ELi11EEEElEENS5_IJNSB_INS5_IJSK_SP_SP_NSQ_INS5_IJiS2E_NS2A_IiLi64EEEEEELb0EEES2Y_EEENS5_IJSU_SV_SW_SX_SY_EEENS5_IJS1P_SX_SY_NST_IJLi5ELi6ELi7EEEENST_IJLi8ELi9ELi10EEEEEEENST_IJLi5ELi6ELi7ELi8ELi9ELi10EEEElEEEEES35_NS_31BlockToCTileMap_M00_N00_M01_N01ILi128ELi128ES1Y_Lb0EEENS1_30ComputePtrOffsetOfStridedBatchILi1ELi1ELi1EvEELb0ELb1EEEvPKT0_S3D_T1_PT2_T3_T4_T5_iT6_T7_T8_T9_T10_T11_.uses_vcc, 1
	.set _ZN2ck16tensor_operation6device12_GLOBAL__N_137kernel_grouped_conv_fwd_dl_multiple_dINS_32GridwiseGemmDlMultipleD_km_kn_mnILi256EDF16_fNS_5TupleIJDF16_EEEDF16_NS0_12element_wise11PassThroughES8_NS7_7AddReluELNS_25InMemoryDataOperationEnumE0ENS_16TensorDescriptorINS5_IJNS_5EmbedINS5_IJiiiiiEEESD_Lb0EEENS_11PassThroughIiEENS_3PadIiiiLb0EEESI_SI_SG_SG_NSC_INS5_IJiiEEESJ_Lb0EEESK_SK_SG_NS_23Merge_v2_magic_divisionINS5_IJiiiiEEEEESN_NS_8RightPadIiiLb0EEESP_NS_7UnMergeISJ_Lb0EEESG_EEENS5_IJNS_8SequenceIJLi0EEEENST_IJLi1EEEENST_IJLi2EEEENST_IJLi3EEEENST_IJLi4EEEENST_IJLi5EEEENST_IJLi6EEEENST_IJLi7EEEENST_IJLi8EEEENST_IJLi9EEEENST_IJLi10EEEENST_IJLi11ELi13ELi15ELi17EEEENST_IJLi12ELi14ELi16ELi18EEEENST_IJLi19EEEENST_IJLi20EEEENST_IJLi22EEEENST_IJLi21EEEEEEENS5_IJNST_IJLi1ELi2ELi3ELi4ELi5EEEES10_S11_S12_S13_S14_NST_IJLi11EEEENST_IJLi12ELi13EEEENST_IJLi14ELi15EEEENST_IJLi16ELi17EEEENST_IJLi18EEEES17_S18_S1A_S19_NST_IJLi23ELi24EEEENST_IJLi25EEEEEEENST_IJLi23ELi25ELi24EEEElEENSB_INS5_IJSR_SP_SP_SR_SG_EEENS5_IJSU_SV_SW_SY_SX_EEENS5_IJNST_IJLi1ELi2EEEESX_SY_NST_IJLi5ELi6EEEES11_EEENST_IJLi5ELi7ELi6EEEElEENSB_INS5_IJSK_SP_SP_EEENS5_IJSU_SV_SW_EEENS5_IJS1P_SX_SY_EEENST_IJLi3ELi4EEEElEELi128ELi128ELi16ELi2ELi4ELi4ELi1ENST_IJLi8ELi2EEEES1Z_NST_IJLi8ELi1ELi1ELi2EEEENST_IJLi2ELi1ELi128ELi1EEEENST_IJLi1ELi2ELi0ELi3EEEES22_NST_IJLi4ELi1ELi1ELi2EEEES22_NST_IJLi1ELi1ELi1ELi2EEEES20_S21_S22_S22_S23_S22_S24_NST_IJLi0ELi1ELi2ELi3ELi4ELi5EEEELi5ELi4EEEDF16_NS5_IJPKDF16_EEEDF16_S8_S8_S9_NSB_INS5_IJSE_SG_SI_SI_SI_SG_SG_SK_SK_SK_SG_SN_SN_SP_SP_SR_SG_SG_NSQ_INS5_IJiNS_17integral_constantIiLi128EEEEEELb0EEENSF_INS2A_IiLi2EEEEEEEENS5_IJSU_SV_SW_SX_SY_SZ_S10_S11_S12_S13_S14_S15_S16_S17_S18_S19_S1A_NST_IJLi23EEEES1J_NST_IJLi24EEEEEEENS5_IJS1C_S10_S11_S12_S13_S14_S1D_S1E_S1F_S1G_S1H_S17_S18_S1A_S19_S1I_S1J_NST_IJLi26EEEENST_IJLi27ELi28EEEENST_IJLi29EEEEEEENST_IJLi26ELi27ELi28ELi29EEEElEENSB_INS5_IJSR_SP_SP_SR_SG_SG_S2D_S2F_EEENS5_IJSU_SV_SW_SY_SX_SZ_S11_S10_EEENS5_IJS1P_SX_SY_S1Q_S11_S12_NST_IJLi9ELi10EEEES1D_EEENST_IJLi8ELi9ELi10ELi11EEEElEENS5_IJNSB_INS5_IJSK_SP_SP_NSQ_INS5_IJiS2E_NS2A_IiLi64EEEEEELb0EEES2Y_EEENS5_IJSU_SV_SW_SX_SY_EEENS5_IJS1P_SX_SY_NST_IJLi5ELi6ELi7EEEENST_IJLi8ELi9ELi10EEEEEEENST_IJLi5ELi6ELi7ELi8ELi9ELi10EEEElEEEEES35_NS_31BlockToCTileMap_M00_N00_M01_N01ILi128ELi128ES1Y_Lb0EEENS1_30ComputePtrOffsetOfStridedBatchILi1ELi1ELi1EvEELb0ELb1EEEvPKT0_S3D_T1_PT2_T3_T4_T5_iT6_T7_T8_T9_T10_T11_.uses_flat_scratch, 0
	.set _ZN2ck16tensor_operation6device12_GLOBAL__N_137kernel_grouped_conv_fwd_dl_multiple_dINS_32GridwiseGemmDlMultipleD_km_kn_mnILi256EDF16_fNS_5TupleIJDF16_EEEDF16_NS0_12element_wise11PassThroughES8_NS7_7AddReluELNS_25InMemoryDataOperationEnumE0ENS_16TensorDescriptorINS5_IJNS_5EmbedINS5_IJiiiiiEEESD_Lb0EEENS_11PassThroughIiEENS_3PadIiiiLb0EEESI_SI_SG_SG_NSC_INS5_IJiiEEESJ_Lb0EEESK_SK_SG_NS_23Merge_v2_magic_divisionINS5_IJiiiiEEEEESN_NS_8RightPadIiiLb0EEESP_NS_7UnMergeISJ_Lb0EEESG_EEENS5_IJNS_8SequenceIJLi0EEEENST_IJLi1EEEENST_IJLi2EEEENST_IJLi3EEEENST_IJLi4EEEENST_IJLi5EEEENST_IJLi6EEEENST_IJLi7EEEENST_IJLi8EEEENST_IJLi9EEEENST_IJLi10EEEENST_IJLi11ELi13ELi15ELi17EEEENST_IJLi12ELi14ELi16ELi18EEEENST_IJLi19EEEENST_IJLi20EEEENST_IJLi22EEEENST_IJLi21EEEEEEENS5_IJNST_IJLi1ELi2ELi3ELi4ELi5EEEES10_S11_S12_S13_S14_NST_IJLi11EEEENST_IJLi12ELi13EEEENST_IJLi14ELi15EEEENST_IJLi16ELi17EEEENST_IJLi18EEEES17_S18_S1A_S19_NST_IJLi23ELi24EEEENST_IJLi25EEEEEEENST_IJLi23ELi25ELi24EEEElEENSB_INS5_IJSR_SP_SP_SR_SG_EEENS5_IJSU_SV_SW_SY_SX_EEENS5_IJNST_IJLi1ELi2EEEESX_SY_NST_IJLi5ELi6EEEES11_EEENST_IJLi5ELi7ELi6EEEElEENSB_INS5_IJSK_SP_SP_EEENS5_IJSU_SV_SW_EEENS5_IJS1P_SX_SY_EEENST_IJLi3ELi4EEEElEELi128ELi128ELi16ELi2ELi4ELi4ELi1ENST_IJLi8ELi2EEEES1Z_NST_IJLi8ELi1ELi1ELi2EEEENST_IJLi2ELi1ELi128ELi1EEEENST_IJLi1ELi2ELi0ELi3EEEES22_NST_IJLi4ELi1ELi1ELi2EEEES22_NST_IJLi1ELi1ELi1ELi2EEEES20_S21_S22_S22_S23_S22_S24_NST_IJLi0ELi1ELi2ELi3ELi4ELi5EEEELi5ELi4EEEDF16_NS5_IJPKDF16_EEEDF16_S8_S8_S9_NSB_INS5_IJSE_SG_SI_SI_SI_SG_SG_SK_SK_SK_SG_SN_SN_SP_SP_SR_SG_SG_NSQ_INS5_IJiNS_17integral_constantIiLi128EEEEEELb0EEENSF_INS2A_IiLi2EEEEEEEENS5_IJSU_SV_SW_SX_SY_SZ_S10_S11_S12_S13_S14_S15_S16_S17_S18_S19_S1A_NST_IJLi23EEEES1J_NST_IJLi24EEEEEEENS5_IJS1C_S10_S11_S12_S13_S14_S1D_S1E_S1F_S1G_S1H_S17_S18_S1A_S19_S1I_S1J_NST_IJLi26EEEENST_IJLi27ELi28EEEENST_IJLi29EEEEEEENST_IJLi26ELi27ELi28ELi29EEEElEENSB_INS5_IJSR_SP_SP_SR_SG_SG_S2D_S2F_EEENS5_IJSU_SV_SW_SY_SX_SZ_S11_S10_EEENS5_IJS1P_SX_SY_S1Q_S11_S12_NST_IJLi9ELi10EEEES1D_EEENST_IJLi8ELi9ELi10ELi11EEEElEENS5_IJNSB_INS5_IJSK_SP_SP_NSQ_INS5_IJiS2E_NS2A_IiLi64EEEEEELb0EEES2Y_EEENS5_IJSU_SV_SW_SX_SY_EEENS5_IJS1P_SX_SY_NST_IJLi5ELi6ELi7EEEENST_IJLi8ELi9ELi10EEEEEEENST_IJLi5ELi6ELi7ELi8ELi9ELi10EEEElEEEEES35_NS_31BlockToCTileMap_M00_N00_M01_N01ILi128ELi128ES1Y_Lb0EEENS1_30ComputePtrOffsetOfStridedBatchILi1ELi1ELi1EvEELb0ELb1EEEvPKT0_S3D_T1_PT2_T3_T4_T5_iT6_T7_T8_T9_T10_T11_.has_dyn_sized_stack, 0
	.set _ZN2ck16tensor_operation6device12_GLOBAL__N_137kernel_grouped_conv_fwd_dl_multiple_dINS_32GridwiseGemmDlMultipleD_km_kn_mnILi256EDF16_fNS_5TupleIJDF16_EEEDF16_NS0_12element_wise11PassThroughES8_NS7_7AddReluELNS_25InMemoryDataOperationEnumE0ENS_16TensorDescriptorINS5_IJNS_5EmbedINS5_IJiiiiiEEESD_Lb0EEENS_11PassThroughIiEENS_3PadIiiiLb0EEESI_SI_SG_SG_NSC_INS5_IJiiEEESJ_Lb0EEESK_SK_SG_NS_23Merge_v2_magic_divisionINS5_IJiiiiEEEEESN_NS_8RightPadIiiLb0EEESP_NS_7UnMergeISJ_Lb0EEESG_EEENS5_IJNS_8SequenceIJLi0EEEENST_IJLi1EEEENST_IJLi2EEEENST_IJLi3EEEENST_IJLi4EEEENST_IJLi5EEEENST_IJLi6EEEENST_IJLi7EEEENST_IJLi8EEEENST_IJLi9EEEENST_IJLi10EEEENST_IJLi11ELi13ELi15ELi17EEEENST_IJLi12ELi14ELi16ELi18EEEENST_IJLi19EEEENST_IJLi20EEEENST_IJLi22EEEENST_IJLi21EEEEEEENS5_IJNST_IJLi1ELi2ELi3ELi4ELi5EEEES10_S11_S12_S13_S14_NST_IJLi11EEEENST_IJLi12ELi13EEEENST_IJLi14ELi15EEEENST_IJLi16ELi17EEEENST_IJLi18EEEES17_S18_S1A_S19_NST_IJLi23ELi24EEEENST_IJLi25EEEEEEENST_IJLi23ELi25ELi24EEEElEENSB_INS5_IJSR_SP_SP_SR_SG_EEENS5_IJSU_SV_SW_SY_SX_EEENS5_IJNST_IJLi1ELi2EEEESX_SY_NST_IJLi5ELi6EEEES11_EEENST_IJLi5ELi7ELi6EEEElEENSB_INS5_IJSK_SP_SP_EEENS5_IJSU_SV_SW_EEENS5_IJS1P_SX_SY_EEENST_IJLi3ELi4EEEElEELi128ELi128ELi16ELi2ELi4ELi4ELi1ENST_IJLi8ELi2EEEES1Z_NST_IJLi8ELi1ELi1ELi2EEEENST_IJLi2ELi1ELi128ELi1EEEENST_IJLi1ELi2ELi0ELi3EEEES22_NST_IJLi4ELi1ELi1ELi2EEEES22_NST_IJLi1ELi1ELi1ELi2EEEES20_S21_S22_S22_S23_S22_S24_NST_IJLi0ELi1ELi2ELi3ELi4ELi5EEEELi5ELi4EEEDF16_NS5_IJPKDF16_EEEDF16_S8_S8_S9_NSB_INS5_IJSE_SG_SI_SI_SI_SG_SG_SK_SK_SK_SG_SN_SN_SP_SP_SR_SG_SG_NSQ_INS5_IJiNS_17integral_constantIiLi128EEEEEELb0EEENSF_INS2A_IiLi2EEEEEEEENS5_IJSU_SV_SW_SX_SY_SZ_S10_S11_S12_S13_S14_S15_S16_S17_S18_S19_S1A_NST_IJLi23EEEES1J_NST_IJLi24EEEEEEENS5_IJS1C_S10_S11_S12_S13_S14_S1D_S1E_S1F_S1G_S1H_S17_S18_S1A_S19_S1I_S1J_NST_IJLi26EEEENST_IJLi27ELi28EEEENST_IJLi29EEEEEEENST_IJLi26ELi27ELi28ELi29EEEElEENSB_INS5_IJSR_SP_SP_SR_SG_SG_S2D_S2F_EEENS5_IJSU_SV_SW_SY_SX_SZ_S11_S10_EEENS5_IJS1P_SX_SY_S1Q_S11_S12_NST_IJLi9ELi10EEEES1D_EEENST_IJLi8ELi9ELi10ELi11EEEElEENS5_IJNSB_INS5_IJSK_SP_SP_NSQ_INS5_IJiS2E_NS2A_IiLi64EEEEEELb0EEES2Y_EEENS5_IJSU_SV_SW_SX_SY_EEENS5_IJS1P_SX_SY_NST_IJLi5ELi6ELi7EEEENST_IJLi8ELi9ELi10EEEEEEENST_IJLi5ELi6ELi7ELi8ELi9ELi10EEEElEEEEES35_NS_31BlockToCTileMap_M00_N00_M01_N01ILi128ELi128ES1Y_Lb0EEENS1_30ComputePtrOffsetOfStridedBatchILi1ELi1ELi1EvEELb0ELb1EEEvPKT0_S3D_T1_PT2_T3_T4_T5_iT6_T7_T8_T9_T10_T11_.has_recursion, 0
	.set _ZN2ck16tensor_operation6device12_GLOBAL__N_137kernel_grouped_conv_fwd_dl_multiple_dINS_32GridwiseGemmDlMultipleD_km_kn_mnILi256EDF16_fNS_5TupleIJDF16_EEEDF16_NS0_12element_wise11PassThroughES8_NS7_7AddReluELNS_25InMemoryDataOperationEnumE0ENS_16TensorDescriptorINS5_IJNS_5EmbedINS5_IJiiiiiEEESD_Lb0EEENS_11PassThroughIiEENS_3PadIiiiLb0EEESI_SI_SG_SG_NSC_INS5_IJiiEEESJ_Lb0EEESK_SK_SG_NS_23Merge_v2_magic_divisionINS5_IJiiiiEEEEESN_NS_8RightPadIiiLb0EEESP_NS_7UnMergeISJ_Lb0EEESG_EEENS5_IJNS_8SequenceIJLi0EEEENST_IJLi1EEEENST_IJLi2EEEENST_IJLi3EEEENST_IJLi4EEEENST_IJLi5EEEENST_IJLi6EEEENST_IJLi7EEEENST_IJLi8EEEENST_IJLi9EEEENST_IJLi10EEEENST_IJLi11ELi13ELi15ELi17EEEENST_IJLi12ELi14ELi16ELi18EEEENST_IJLi19EEEENST_IJLi20EEEENST_IJLi22EEEENST_IJLi21EEEEEEENS5_IJNST_IJLi1ELi2ELi3ELi4ELi5EEEES10_S11_S12_S13_S14_NST_IJLi11EEEENST_IJLi12ELi13EEEENST_IJLi14ELi15EEEENST_IJLi16ELi17EEEENST_IJLi18EEEES17_S18_S1A_S19_NST_IJLi23ELi24EEEENST_IJLi25EEEEEEENST_IJLi23ELi25ELi24EEEElEENSB_INS5_IJSR_SP_SP_SR_SG_EEENS5_IJSU_SV_SW_SY_SX_EEENS5_IJNST_IJLi1ELi2EEEESX_SY_NST_IJLi5ELi6EEEES11_EEENST_IJLi5ELi7ELi6EEEElEENSB_INS5_IJSK_SP_SP_EEENS5_IJSU_SV_SW_EEENS5_IJS1P_SX_SY_EEENST_IJLi3ELi4EEEElEELi128ELi128ELi16ELi2ELi4ELi4ELi1ENST_IJLi8ELi2EEEES1Z_NST_IJLi8ELi1ELi1ELi2EEEENST_IJLi2ELi1ELi128ELi1EEEENST_IJLi1ELi2ELi0ELi3EEEES22_NST_IJLi4ELi1ELi1ELi2EEEES22_NST_IJLi1ELi1ELi1ELi2EEEES20_S21_S22_S22_S23_S22_S24_NST_IJLi0ELi1ELi2ELi3ELi4ELi5EEEELi5ELi4EEEDF16_NS5_IJPKDF16_EEEDF16_S8_S8_S9_NSB_INS5_IJSE_SG_SI_SI_SI_SG_SG_SK_SK_SK_SG_SN_SN_SP_SP_SR_SG_SG_NSQ_INS5_IJiNS_17integral_constantIiLi128EEEEEELb0EEENSF_INS2A_IiLi2EEEEEEEENS5_IJSU_SV_SW_SX_SY_SZ_S10_S11_S12_S13_S14_S15_S16_S17_S18_S19_S1A_NST_IJLi23EEEES1J_NST_IJLi24EEEEEEENS5_IJS1C_S10_S11_S12_S13_S14_S1D_S1E_S1F_S1G_S1H_S17_S18_S1A_S19_S1I_S1J_NST_IJLi26EEEENST_IJLi27ELi28EEEENST_IJLi29EEEEEEENST_IJLi26ELi27ELi28ELi29EEEElEENSB_INS5_IJSR_SP_SP_SR_SG_SG_S2D_S2F_EEENS5_IJSU_SV_SW_SY_SX_SZ_S11_S10_EEENS5_IJS1P_SX_SY_S1Q_S11_S12_NST_IJLi9ELi10EEEES1D_EEENST_IJLi8ELi9ELi10ELi11EEEElEENS5_IJNSB_INS5_IJSK_SP_SP_NSQ_INS5_IJiS2E_NS2A_IiLi64EEEEEELb0EEES2Y_EEENS5_IJSU_SV_SW_SX_SY_EEENS5_IJS1P_SX_SY_NST_IJLi5ELi6ELi7EEEENST_IJLi8ELi9ELi10EEEEEEENST_IJLi5ELi6ELi7ELi8ELi9ELi10EEEElEEEEES35_NS_31BlockToCTileMap_M00_N00_M01_N01ILi128ELi128ES1Y_Lb0EEENS1_30ComputePtrOffsetOfStridedBatchILi1ELi1ELi1EvEELb0ELb1EEEvPKT0_S3D_T1_PT2_T3_T4_T5_iT6_T7_T8_T9_T10_T11_.has_indirect_call, 0
	.section	.AMDGPU.csdata,"",@progbits
; Kernel info:
; codeLenInByte = 23364
; TotalNumSgprs: 85
; NumVgprs: 125
; ScratchSize: 0
; MemoryBound: 0
; FloatMode: 240
; IeeeMode: 1
; LDSByteSize: 32768 bytes/workgroup (compile time only)
; SGPRBlocks: 12
; VGPRBlocks: 31
; NumSGPRsForWavesPerEU: 102
; NumVGPRsForWavesPerEU: 125
; Occupancy: 2
; WaveLimiterHint : 0
; COMPUTE_PGM_RSRC2:SCRATCH_EN: 0
; COMPUTE_PGM_RSRC2:USER_SGPR: 6
; COMPUTE_PGM_RSRC2:TRAP_HANDLER: 0
; COMPUTE_PGM_RSRC2:TGID_X_EN: 1
; COMPUTE_PGM_RSRC2:TGID_Y_EN: 0
; COMPUTE_PGM_RSRC2:TGID_Z_EN: 0
; COMPUTE_PGM_RSRC2:TIDIG_COMP_CNT: 0
	.section	.text._ZN2ck16tensor_operation6device12_GLOBAL__N_137kernel_grouped_conv_fwd_dl_multiple_dINS_32GridwiseGemmDlMultipleD_km_kn_mnILi256EDF16_fNS_5TupleIJDF16_EEEDF16_NS0_12element_wise11PassThroughES8_NS7_7AddReluELNS_25InMemoryDataOperationEnumE0ENS_16TensorDescriptorINS5_IJNS_5EmbedINS5_IJiiiiiEEESD_Lb0EEENS_11PassThroughIiEENS_3PadIiiiLb0EEESI_SI_SG_SG_NSC_INS5_IJiiEEESJ_Lb0EEESK_SK_SG_NS_23Merge_v2_magic_divisionINS5_IJiiiiEEEEESN_NS_8RightPadIiiLb0EEESP_NS_7UnMergeISJ_Lb0EEESG_EEENS5_IJNS_8SequenceIJLi0EEEENST_IJLi1EEEENST_IJLi2EEEENST_IJLi3EEEENST_IJLi4EEEENST_IJLi5EEEENST_IJLi6EEEENST_IJLi7EEEENST_IJLi8EEEENST_IJLi9EEEENST_IJLi10EEEENST_IJLi11ELi13ELi15ELi17EEEENST_IJLi12ELi14ELi16ELi18EEEENST_IJLi19EEEENST_IJLi20EEEENST_IJLi22EEEENST_IJLi21EEEEEEENS5_IJNST_IJLi1ELi2ELi3ELi4ELi5EEEES10_S11_S12_S13_S14_NST_IJLi11EEEENST_IJLi12ELi13EEEENST_IJLi14ELi15EEEENST_IJLi16ELi17EEEENST_IJLi18EEEES17_S18_S1A_S19_NST_IJLi23ELi24EEEENST_IJLi25EEEEEEENST_IJLi23ELi25ELi24EEEElEENSB_INS5_IJSR_SP_SP_SR_SG_EEENS5_IJSU_SV_SW_SY_SX_EEENS5_IJNST_IJLi1ELi2EEEESX_SY_NST_IJLi5ELi6EEEES11_EEENST_IJLi5ELi7ELi6EEEElEENSB_INS5_IJSK_SP_SP_EEENS5_IJSU_SV_SW_EEENS5_IJS1P_SX_SY_EEENST_IJLi3ELi4EEEElEELi128ELi128ELi16ELi2ELi4ELi4ELi1ENST_IJLi8ELi2EEEES1Z_NST_IJLi8ELi1ELi1ELi2EEEENST_IJLi2ELi1ELi128ELi1EEEENST_IJLi1ELi2ELi0ELi3EEEES22_NST_IJLi4ELi1ELi1ELi2EEEES22_NST_IJLi1ELi1ELi1ELi2EEEES20_S21_S22_S22_S23_S22_S24_NST_IJLi0ELi1ELi2ELi3ELi4ELi5EEEELi5ELi4EEEDF16_NS5_IJPKDF16_EEEDF16_S8_S8_S9_NSB_INS5_IJSE_SG_SI_SI_SI_SG_SG_SK_SK_SK_SG_SN_SN_SP_SP_SR_SG_SG_NSQ_INS5_IJiNS_17integral_constantIiLi128EEEEEELb0EEENSF_INS2A_IiLi2EEEEEEEENS5_IJSU_SV_SW_SX_SY_SZ_S10_S11_S12_S13_S14_S15_S16_S17_S18_S19_S1A_NST_IJLi23EEEES1J_NST_IJLi24EEEEEEENS5_IJS1C_S10_S11_S12_S13_S14_S1D_S1E_S1F_S1G_S1H_S17_S18_S1A_S19_S1I_S1J_NST_IJLi26EEEENST_IJLi27ELi28EEEENST_IJLi29EEEEEEENST_IJLi26ELi27ELi28ELi29EEEElEENSB_INS5_IJSR_SP_SP_SR_SG_SG_S2D_S2F_EEENS5_IJSU_SV_SW_SY_SX_SZ_S11_S10_EEENS5_IJS1P_SX_SY_S1Q_S11_S12_NST_IJLi9ELi10EEEES1D_EEENST_IJLi8ELi9ELi10ELi11EEEElEENS5_IJNSB_INS5_IJSK_SP_SP_NSQ_INS5_IJiS2E_NS2A_IiLi64EEEEEELb0EEES2Y_EEENS5_IJSU_SV_SW_SX_SY_EEENS5_IJS1P_SX_SY_NST_IJLi5ELi6ELi7EEEENST_IJLi8ELi9ELi10EEEEEEENST_IJLi5ELi6ELi7ELi8ELi9ELi10EEEElEEEEES35_NS_31BlockToCTileMap_M00_N00_M01_N01ILi128ELi128ES1Y_Lb0EEENS1_30ComputePtrOffsetOfStridedBatchILi1ELi1ELi1EvEELb0ELb0EEEvPKT0_S3D_T1_PT2_T3_T4_T5_iT6_T7_T8_T9_T10_T11_,"axG",@progbits,_ZN2ck16tensor_operation6device12_GLOBAL__N_137kernel_grouped_conv_fwd_dl_multiple_dINS_32GridwiseGemmDlMultipleD_km_kn_mnILi256EDF16_fNS_5TupleIJDF16_EEEDF16_NS0_12element_wise11PassThroughES8_NS7_7AddReluELNS_25InMemoryDataOperationEnumE0ENS_16TensorDescriptorINS5_IJNS_5EmbedINS5_IJiiiiiEEESD_Lb0EEENS_11PassThroughIiEENS_3PadIiiiLb0EEESI_SI_SG_SG_NSC_INS5_IJiiEEESJ_Lb0EEESK_SK_SG_NS_23Merge_v2_magic_divisionINS5_IJiiiiEEEEESN_NS_8RightPadIiiLb0EEESP_NS_7UnMergeISJ_Lb0EEESG_EEENS5_IJNS_8SequenceIJLi0EEEENST_IJLi1EEEENST_IJLi2EEEENST_IJLi3EEEENST_IJLi4EEEENST_IJLi5EEEENST_IJLi6EEEENST_IJLi7EEEENST_IJLi8EEEENST_IJLi9EEEENST_IJLi10EEEENST_IJLi11ELi13ELi15ELi17EEEENST_IJLi12ELi14ELi16ELi18EEEENST_IJLi19EEEENST_IJLi20EEEENST_IJLi22EEEENST_IJLi21EEEEEEENS5_IJNST_IJLi1ELi2ELi3ELi4ELi5EEEES10_S11_S12_S13_S14_NST_IJLi11EEEENST_IJLi12ELi13EEEENST_IJLi14ELi15EEEENST_IJLi16ELi17EEEENST_IJLi18EEEES17_S18_S1A_S19_NST_IJLi23ELi24EEEENST_IJLi25EEEEEEENST_IJLi23ELi25ELi24EEEElEENSB_INS5_IJSR_SP_SP_SR_SG_EEENS5_IJSU_SV_SW_SY_SX_EEENS5_IJNST_IJLi1ELi2EEEESX_SY_NST_IJLi5ELi6EEEES11_EEENST_IJLi5ELi7ELi6EEEElEENSB_INS5_IJSK_SP_SP_EEENS5_IJSU_SV_SW_EEENS5_IJS1P_SX_SY_EEENST_IJLi3ELi4EEEElEELi128ELi128ELi16ELi2ELi4ELi4ELi1ENST_IJLi8ELi2EEEES1Z_NST_IJLi8ELi1ELi1ELi2EEEENST_IJLi2ELi1ELi128ELi1EEEENST_IJLi1ELi2ELi0ELi3EEEES22_NST_IJLi4ELi1ELi1ELi2EEEES22_NST_IJLi1ELi1ELi1ELi2EEEES20_S21_S22_S22_S23_S22_S24_NST_IJLi0ELi1ELi2ELi3ELi4ELi5EEEELi5ELi4EEEDF16_NS5_IJPKDF16_EEEDF16_S8_S8_S9_NSB_INS5_IJSE_SG_SI_SI_SI_SG_SG_SK_SK_SK_SG_SN_SN_SP_SP_SR_SG_SG_NSQ_INS5_IJiNS_17integral_constantIiLi128EEEEEELb0EEENSF_INS2A_IiLi2EEEEEEEENS5_IJSU_SV_SW_SX_SY_SZ_S10_S11_S12_S13_S14_S15_S16_S17_S18_S19_S1A_NST_IJLi23EEEES1J_NST_IJLi24EEEEEEENS5_IJS1C_S10_S11_S12_S13_S14_S1D_S1E_S1F_S1G_S1H_S17_S18_S1A_S19_S1I_S1J_NST_IJLi26EEEENST_IJLi27ELi28EEEENST_IJLi29EEEEEEENST_IJLi26ELi27ELi28ELi29EEEElEENSB_INS5_IJSR_SP_SP_SR_SG_SG_S2D_S2F_EEENS5_IJSU_SV_SW_SY_SX_SZ_S11_S10_EEENS5_IJS1P_SX_SY_S1Q_S11_S12_NST_IJLi9ELi10EEEES1D_EEENST_IJLi8ELi9ELi10ELi11EEEElEENS5_IJNSB_INS5_IJSK_SP_SP_NSQ_INS5_IJiS2E_NS2A_IiLi64EEEEEELb0EEES2Y_EEENS5_IJSU_SV_SW_SX_SY_EEENS5_IJS1P_SX_SY_NST_IJLi5ELi6ELi7EEEENST_IJLi8ELi9ELi10EEEEEEENST_IJLi5ELi6ELi7ELi8ELi9ELi10EEEElEEEEES35_NS_31BlockToCTileMap_M00_N00_M01_N01ILi128ELi128ES1Y_Lb0EEENS1_30ComputePtrOffsetOfStridedBatchILi1ELi1ELi1EvEELb0ELb0EEEvPKT0_S3D_T1_PT2_T3_T4_T5_iT6_T7_T8_T9_T10_T11_,comdat
	.globl	_ZN2ck16tensor_operation6device12_GLOBAL__N_137kernel_grouped_conv_fwd_dl_multiple_dINS_32GridwiseGemmDlMultipleD_km_kn_mnILi256EDF16_fNS_5TupleIJDF16_EEEDF16_NS0_12element_wise11PassThroughES8_NS7_7AddReluELNS_25InMemoryDataOperationEnumE0ENS_16TensorDescriptorINS5_IJNS_5EmbedINS5_IJiiiiiEEESD_Lb0EEENS_11PassThroughIiEENS_3PadIiiiLb0EEESI_SI_SG_SG_NSC_INS5_IJiiEEESJ_Lb0EEESK_SK_SG_NS_23Merge_v2_magic_divisionINS5_IJiiiiEEEEESN_NS_8RightPadIiiLb0EEESP_NS_7UnMergeISJ_Lb0EEESG_EEENS5_IJNS_8SequenceIJLi0EEEENST_IJLi1EEEENST_IJLi2EEEENST_IJLi3EEEENST_IJLi4EEEENST_IJLi5EEEENST_IJLi6EEEENST_IJLi7EEEENST_IJLi8EEEENST_IJLi9EEEENST_IJLi10EEEENST_IJLi11ELi13ELi15ELi17EEEENST_IJLi12ELi14ELi16ELi18EEEENST_IJLi19EEEENST_IJLi20EEEENST_IJLi22EEEENST_IJLi21EEEEEEENS5_IJNST_IJLi1ELi2ELi3ELi4ELi5EEEES10_S11_S12_S13_S14_NST_IJLi11EEEENST_IJLi12ELi13EEEENST_IJLi14ELi15EEEENST_IJLi16ELi17EEEENST_IJLi18EEEES17_S18_S1A_S19_NST_IJLi23ELi24EEEENST_IJLi25EEEEEEENST_IJLi23ELi25ELi24EEEElEENSB_INS5_IJSR_SP_SP_SR_SG_EEENS5_IJSU_SV_SW_SY_SX_EEENS5_IJNST_IJLi1ELi2EEEESX_SY_NST_IJLi5ELi6EEEES11_EEENST_IJLi5ELi7ELi6EEEElEENSB_INS5_IJSK_SP_SP_EEENS5_IJSU_SV_SW_EEENS5_IJS1P_SX_SY_EEENST_IJLi3ELi4EEEElEELi128ELi128ELi16ELi2ELi4ELi4ELi1ENST_IJLi8ELi2EEEES1Z_NST_IJLi8ELi1ELi1ELi2EEEENST_IJLi2ELi1ELi128ELi1EEEENST_IJLi1ELi2ELi0ELi3EEEES22_NST_IJLi4ELi1ELi1ELi2EEEES22_NST_IJLi1ELi1ELi1ELi2EEEES20_S21_S22_S22_S23_S22_S24_NST_IJLi0ELi1ELi2ELi3ELi4ELi5EEEELi5ELi4EEEDF16_NS5_IJPKDF16_EEEDF16_S8_S8_S9_NSB_INS5_IJSE_SG_SI_SI_SI_SG_SG_SK_SK_SK_SG_SN_SN_SP_SP_SR_SG_SG_NSQ_INS5_IJiNS_17integral_constantIiLi128EEEEEELb0EEENSF_INS2A_IiLi2EEEEEEEENS5_IJSU_SV_SW_SX_SY_SZ_S10_S11_S12_S13_S14_S15_S16_S17_S18_S19_S1A_NST_IJLi23EEEES1J_NST_IJLi24EEEEEEENS5_IJS1C_S10_S11_S12_S13_S14_S1D_S1E_S1F_S1G_S1H_S17_S18_S1A_S19_S1I_S1J_NST_IJLi26EEEENST_IJLi27ELi28EEEENST_IJLi29EEEEEEENST_IJLi26ELi27ELi28ELi29EEEElEENSB_INS5_IJSR_SP_SP_SR_SG_SG_S2D_S2F_EEENS5_IJSU_SV_SW_SY_SX_SZ_S11_S10_EEENS5_IJS1P_SX_SY_S1Q_S11_S12_NST_IJLi9ELi10EEEES1D_EEENST_IJLi8ELi9ELi10ELi11EEEElEENS5_IJNSB_INS5_IJSK_SP_SP_NSQ_INS5_IJiS2E_NS2A_IiLi64EEEEEELb0EEES2Y_EEENS5_IJSU_SV_SW_SX_SY_EEENS5_IJS1P_SX_SY_NST_IJLi5ELi6ELi7EEEENST_IJLi8ELi9ELi10EEEEEEENST_IJLi5ELi6ELi7ELi8ELi9ELi10EEEElEEEEES35_NS_31BlockToCTileMap_M00_N00_M01_N01ILi128ELi128ES1Y_Lb0EEENS1_30ComputePtrOffsetOfStridedBatchILi1ELi1ELi1EvEELb0ELb0EEEvPKT0_S3D_T1_PT2_T3_T4_T5_iT6_T7_T8_T9_T10_T11_ ; -- Begin function _ZN2ck16tensor_operation6device12_GLOBAL__N_137kernel_grouped_conv_fwd_dl_multiple_dINS_32GridwiseGemmDlMultipleD_km_kn_mnILi256EDF16_fNS_5TupleIJDF16_EEEDF16_NS0_12element_wise11PassThroughES8_NS7_7AddReluELNS_25InMemoryDataOperationEnumE0ENS_16TensorDescriptorINS5_IJNS_5EmbedINS5_IJiiiiiEEESD_Lb0EEENS_11PassThroughIiEENS_3PadIiiiLb0EEESI_SI_SG_SG_NSC_INS5_IJiiEEESJ_Lb0EEESK_SK_SG_NS_23Merge_v2_magic_divisionINS5_IJiiiiEEEEESN_NS_8RightPadIiiLb0EEESP_NS_7UnMergeISJ_Lb0EEESG_EEENS5_IJNS_8SequenceIJLi0EEEENST_IJLi1EEEENST_IJLi2EEEENST_IJLi3EEEENST_IJLi4EEEENST_IJLi5EEEENST_IJLi6EEEENST_IJLi7EEEENST_IJLi8EEEENST_IJLi9EEEENST_IJLi10EEEENST_IJLi11ELi13ELi15ELi17EEEENST_IJLi12ELi14ELi16ELi18EEEENST_IJLi19EEEENST_IJLi20EEEENST_IJLi22EEEENST_IJLi21EEEEEEENS5_IJNST_IJLi1ELi2ELi3ELi4ELi5EEEES10_S11_S12_S13_S14_NST_IJLi11EEEENST_IJLi12ELi13EEEENST_IJLi14ELi15EEEENST_IJLi16ELi17EEEENST_IJLi18EEEES17_S18_S1A_S19_NST_IJLi23ELi24EEEENST_IJLi25EEEEEEENST_IJLi23ELi25ELi24EEEElEENSB_INS5_IJSR_SP_SP_SR_SG_EEENS5_IJSU_SV_SW_SY_SX_EEENS5_IJNST_IJLi1ELi2EEEESX_SY_NST_IJLi5ELi6EEEES11_EEENST_IJLi5ELi7ELi6EEEElEENSB_INS5_IJSK_SP_SP_EEENS5_IJSU_SV_SW_EEENS5_IJS1P_SX_SY_EEENST_IJLi3ELi4EEEElEELi128ELi128ELi16ELi2ELi4ELi4ELi1ENST_IJLi8ELi2EEEES1Z_NST_IJLi8ELi1ELi1ELi2EEEENST_IJLi2ELi1ELi128ELi1EEEENST_IJLi1ELi2ELi0ELi3EEEES22_NST_IJLi4ELi1ELi1ELi2EEEES22_NST_IJLi1ELi1ELi1ELi2EEEES20_S21_S22_S22_S23_S22_S24_NST_IJLi0ELi1ELi2ELi3ELi4ELi5EEEELi5ELi4EEEDF16_NS5_IJPKDF16_EEEDF16_S8_S8_S9_NSB_INS5_IJSE_SG_SI_SI_SI_SG_SG_SK_SK_SK_SG_SN_SN_SP_SP_SR_SG_SG_NSQ_INS5_IJiNS_17integral_constantIiLi128EEEEEELb0EEENSF_INS2A_IiLi2EEEEEEEENS5_IJSU_SV_SW_SX_SY_SZ_S10_S11_S12_S13_S14_S15_S16_S17_S18_S19_S1A_NST_IJLi23EEEES1J_NST_IJLi24EEEEEEENS5_IJS1C_S10_S11_S12_S13_S14_S1D_S1E_S1F_S1G_S1H_S17_S18_S1A_S19_S1I_S1J_NST_IJLi26EEEENST_IJLi27ELi28EEEENST_IJLi29EEEEEEENST_IJLi26ELi27ELi28ELi29EEEElEENSB_INS5_IJSR_SP_SP_SR_SG_SG_S2D_S2F_EEENS5_IJSU_SV_SW_SY_SX_SZ_S11_S10_EEENS5_IJS1P_SX_SY_S1Q_S11_S12_NST_IJLi9ELi10EEEES1D_EEENST_IJLi8ELi9ELi10ELi11EEEElEENS5_IJNSB_INS5_IJSK_SP_SP_NSQ_INS5_IJiS2E_NS2A_IiLi64EEEEEELb0EEES2Y_EEENS5_IJSU_SV_SW_SX_SY_EEENS5_IJS1P_SX_SY_NST_IJLi5ELi6ELi7EEEENST_IJLi8ELi9ELi10EEEEEEENST_IJLi5ELi6ELi7ELi8ELi9ELi10EEEElEEEEES35_NS_31BlockToCTileMap_M00_N00_M01_N01ILi128ELi128ES1Y_Lb0EEENS1_30ComputePtrOffsetOfStridedBatchILi1ELi1ELi1EvEELb0ELb0EEEvPKT0_S3D_T1_PT2_T3_T4_T5_iT6_T7_T8_T9_T10_T11_
	.p2align	8
	.type	_ZN2ck16tensor_operation6device12_GLOBAL__N_137kernel_grouped_conv_fwd_dl_multiple_dINS_32GridwiseGemmDlMultipleD_km_kn_mnILi256EDF16_fNS_5TupleIJDF16_EEEDF16_NS0_12element_wise11PassThroughES8_NS7_7AddReluELNS_25InMemoryDataOperationEnumE0ENS_16TensorDescriptorINS5_IJNS_5EmbedINS5_IJiiiiiEEESD_Lb0EEENS_11PassThroughIiEENS_3PadIiiiLb0EEESI_SI_SG_SG_NSC_INS5_IJiiEEESJ_Lb0EEESK_SK_SG_NS_23Merge_v2_magic_divisionINS5_IJiiiiEEEEESN_NS_8RightPadIiiLb0EEESP_NS_7UnMergeISJ_Lb0EEESG_EEENS5_IJNS_8SequenceIJLi0EEEENST_IJLi1EEEENST_IJLi2EEEENST_IJLi3EEEENST_IJLi4EEEENST_IJLi5EEEENST_IJLi6EEEENST_IJLi7EEEENST_IJLi8EEEENST_IJLi9EEEENST_IJLi10EEEENST_IJLi11ELi13ELi15ELi17EEEENST_IJLi12ELi14ELi16ELi18EEEENST_IJLi19EEEENST_IJLi20EEEENST_IJLi22EEEENST_IJLi21EEEEEEENS5_IJNST_IJLi1ELi2ELi3ELi4ELi5EEEES10_S11_S12_S13_S14_NST_IJLi11EEEENST_IJLi12ELi13EEEENST_IJLi14ELi15EEEENST_IJLi16ELi17EEEENST_IJLi18EEEES17_S18_S1A_S19_NST_IJLi23ELi24EEEENST_IJLi25EEEEEEENST_IJLi23ELi25ELi24EEEElEENSB_INS5_IJSR_SP_SP_SR_SG_EEENS5_IJSU_SV_SW_SY_SX_EEENS5_IJNST_IJLi1ELi2EEEESX_SY_NST_IJLi5ELi6EEEES11_EEENST_IJLi5ELi7ELi6EEEElEENSB_INS5_IJSK_SP_SP_EEENS5_IJSU_SV_SW_EEENS5_IJS1P_SX_SY_EEENST_IJLi3ELi4EEEElEELi128ELi128ELi16ELi2ELi4ELi4ELi1ENST_IJLi8ELi2EEEES1Z_NST_IJLi8ELi1ELi1ELi2EEEENST_IJLi2ELi1ELi128ELi1EEEENST_IJLi1ELi2ELi0ELi3EEEES22_NST_IJLi4ELi1ELi1ELi2EEEES22_NST_IJLi1ELi1ELi1ELi2EEEES20_S21_S22_S22_S23_S22_S24_NST_IJLi0ELi1ELi2ELi3ELi4ELi5EEEELi5ELi4EEEDF16_NS5_IJPKDF16_EEEDF16_S8_S8_S9_NSB_INS5_IJSE_SG_SI_SI_SI_SG_SG_SK_SK_SK_SG_SN_SN_SP_SP_SR_SG_SG_NSQ_INS5_IJiNS_17integral_constantIiLi128EEEEEELb0EEENSF_INS2A_IiLi2EEEEEEEENS5_IJSU_SV_SW_SX_SY_SZ_S10_S11_S12_S13_S14_S15_S16_S17_S18_S19_S1A_NST_IJLi23EEEES1J_NST_IJLi24EEEEEEENS5_IJS1C_S10_S11_S12_S13_S14_S1D_S1E_S1F_S1G_S1H_S17_S18_S1A_S19_S1I_S1J_NST_IJLi26EEEENST_IJLi27ELi28EEEENST_IJLi29EEEEEEENST_IJLi26ELi27ELi28ELi29EEEElEENSB_INS5_IJSR_SP_SP_SR_SG_SG_S2D_S2F_EEENS5_IJSU_SV_SW_SY_SX_SZ_S11_S10_EEENS5_IJS1P_SX_SY_S1Q_S11_S12_NST_IJLi9ELi10EEEES1D_EEENST_IJLi8ELi9ELi10ELi11EEEElEENS5_IJNSB_INS5_IJSK_SP_SP_NSQ_INS5_IJiS2E_NS2A_IiLi64EEEEEELb0EEES2Y_EEENS5_IJSU_SV_SW_SX_SY_EEENS5_IJS1P_SX_SY_NST_IJLi5ELi6ELi7EEEENST_IJLi8ELi9ELi10EEEEEEENST_IJLi5ELi6ELi7ELi8ELi9ELi10EEEElEEEEES35_NS_31BlockToCTileMap_M00_N00_M01_N01ILi128ELi128ES1Y_Lb0EEENS1_30ComputePtrOffsetOfStridedBatchILi1ELi1ELi1EvEELb0ELb0EEEvPKT0_S3D_T1_PT2_T3_T4_T5_iT6_T7_T8_T9_T10_T11_,@function
_ZN2ck16tensor_operation6device12_GLOBAL__N_137kernel_grouped_conv_fwd_dl_multiple_dINS_32GridwiseGemmDlMultipleD_km_kn_mnILi256EDF16_fNS_5TupleIJDF16_EEEDF16_NS0_12element_wise11PassThroughES8_NS7_7AddReluELNS_25InMemoryDataOperationEnumE0ENS_16TensorDescriptorINS5_IJNS_5EmbedINS5_IJiiiiiEEESD_Lb0EEENS_11PassThroughIiEENS_3PadIiiiLb0EEESI_SI_SG_SG_NSC_INS5_IJiiEEESJ_Lb0EEESK_SK_SG_NS_23Merge_v2_magic_divisionINS5_IJiiiiEEEEESN_NS_8RightPadIiiLb0EEESP_NS_7UnMergeISJ_Lb0EEESG_EEENS5_IJNS_8SequenceIJLi0EEEENST_IJLi1EEEENST_IJLi2EEEENST_IJLi3EEEENST_IJLi4EEEENST_IJLi5EEEENST_IJLi6EEEENST_IJLi7EEEENST_IJLi8EEEENST_IJLi9EEEENST_IJLi10EEEENST_IJLi11ELi13ELi15ELi17EEEENST_IJLi12ELi14ELi16ELi18EEEENST_IJLi19EEEENST_IJLi20EEEENST_IJLi22EEEENST_IJLi21EEEEEEENS5_IJNST_IJLi1ELi2ELi3ELi4ELi5EEEES10_S11_S12_S13_S14_NST_IJLi11EEEENST_IJLi12ELi13EEEENST_IJLi14ELi15EEEENST_IJLi16ELi17EEEENST_IJLi18EEEES17_S18_S1A_S19_NST_IJLi23ELi24EEEENST_IJLi25EEEEEEENST_IJLi23ELi25ELi24EEEElEENSB_INS5_IJSR_SP_SP_SR_SG_EEENS5_IJSU_SV_SW_SY_SX_EEENS5_IJNST_IJLi1ELi2EEEESX_SY_NST_IJLi5ELi6EEEES11_EEENST_IJLi5ELi7ELi6EEEElEENSB_INS5_IJSK_SP_SP_EEENS5_IJSU_SV_SW_EEENS5_IJS1P_SX_SY_EEENST_IJLi3ELi4EEEElEELi128ELi128ELi16ELi2ELi4ELi4ELi1ENST_IJLi8ELi2EEEES1Z_NST_IJLi8ELi1ELi1ELi2EEEENST_IJLi2ELi1ELi128ELi1EEEENST_IJLi1ELi2ELi0ELi3EEEES22_NST_IJLi4ELi1ELi1ELi2EEEES22_NST_IJLi1ELi1ELi1ELi2EEEES20_S21_S22_S22_S23_S22_S24_NST_IJLi0ELi1ELi2ELi3ELi4ELi5EEEELi5ELi4EEEDF16_NS5_IJPKDF16_EEEDF16_S8_S8_S9_NSB_INS5_IJSE_SG_SI_SI_SI_SG_SG_SK_SK_SK_SG_SN_SN_SP_SP_SR_SG_SG_NSQ_INS5_IJiNS_17integral_constantIiLi128EEEEEELb0EEENSF_INS2A_IiLi2EEEEEEEENS5_IJSU_SV_SW_SX_SY_SZ_S10_S11_S12_S13_S14_S15_S16_S17_S18_S19_S1A_NST_IJLi23EEEES1J_NST_IJLi24EEEEEEENS5_IJS1C_S10_S11_S12_S13_S14_S1D_S1E_S1F_S1G_S1H_S17_S18_S1A_S19_S1I_S1J_NST_IJLi26EEEENST_IJLi27ELi28EEEENST_IJLi29EEEEEEENST_IJLi26ELi27ELi28ELi29EEEElEENSB_INS5_IJSR_SP_SP_SR_SG_SG_S2D_S2F_EEENS5_IJSU_SV_SW_SY_SX_SZ_S11_S10_EEENS5_IJS1P_SX_SY_S1Q_S11_S12_NST_IJLi9ELi10EEEES1D_EEENST_IJLi8ELi9ELi10ELi11EEEElEENS5_IJNSB_INS5_IJSK_SP_SP_NSQ_INS5_IJiS2E_NS2A_IiLi64EEEEEELb0EEES2Y_EEENS5_IJSU_SV_SW_SX_SY_EEENS5_IJS1P_SX_SY_NST_IJLi5ELi6ELi7EEEENST_IJLi8ELi9ELi10EEEEEEENST_IJLi5ELi6ELi7ELi8ELi9ELi10EEEElEEEEES35_NS_31BlockToCTileMap_M00_N00_M01_N01ILi128ELi128ES1Y_Lb0EEENS1_30ComputePtrOffsetOfStridedBatchILi1ELi1ELi1EvEELb0ELb0EEEvPKT0_S3D_T1_PT2_T3_T4_T5_iT6_T7_T8_T9_T10_T11_: ; @_ZN2ck16tensor_operation6device12_GLOBAL__N_137kernel_grouped_conv_fwd_dl_multiple_dINS_32GridwiseGemmDlMultipleD_km_kn_mnILi256EDF16_fNS_5TupleIJDF16_EEEDF16_NS0_12element_wise11PassThroughES8_NS7_7AddReluELNS_25InMemoryDataOperationEnumE0ENS_16TensorDescriptorINS5_IJNS_5EmbedINS5_IJiiiiiEEESD_Lb0EEENS_11PassThroughIiEENS_3PadIiiiLb0EEESI_SI_SG_SG_NSC_INS5_IJiiEEESJ_Lb0EEESK_SK_SG_NS_23Merge_v2_magic_divisionINS5_IJiiiiEEEEESN_NS_8RightPadIiiLb0EEESP_NS_7UnMergeISJ_Lb0EEESG_EEENS5_IJNS_8SequenceIJLi0EEEENST_IJLi1EEEENST_IJLi2EEEENST_IJLi3EEEENST_IJLi4EEEENST_IJLi5EEEENST_IJLi6EEEENST_IJLi7EEEENST_IJLi8EEEENST_IJLi9EEEENST_IJLi10EEEENST_IJLi11ELi13ELi15ELi17EEEENST_IJLi12ELi14ELi16ELi18EEEENST_IJLi19EEEENST_IJLi20EEEENST_IJLi22EEEENST_IJLi21EEEEEEENS5_IJNST_IJLi1ELi2ELi3ELi4ELi5EEEES10_S11_S12_S13_S14_NST_IJLi11EEEENST_IJLi12ELi13EEEENST_IJLi14ELi15EEEENST_IJLi16ELi17EEEENST_IJLi18EEEES17_S18_S1A_S19_NST_IJLi23ELi24EEEENST_IJLi25EEEEEEENST_IJLi23ELi25ELi24EEEElEENSB_INS5_IJSR_SP_SP_SR_SG_EEENS5_IJSU_SV_SW_SY_SX_EEENS5_IJNST_IJLi1ELi2EEEESX_SY_NST_IJLi5ELi6EEEES11_EEENST_IJLi5ELi7ELi6EEEElEENSB_INS5_IJSK_SP_SP_EEENS5_IJSU_SV_SW_EEENS5_IJS1P_SX_SY_EEENST_IJLi3ELi4EEEElEELi128ELi128ELi16ELi2ELi4ELi4ELi1ENST_IJLi8ELi2EEEES1Z_NST_IJLi8ELi1ELi1ELi2EEEENST_IJLi2ELi1ELi128ELi1EEEENST_IJLi1ELi2ELi0ELi3EEEES22_NST_IJLi4ELi1ELi1ELi2EEEES22_NST_IJLi1ELi1ELi1ELi2EEEES20_S21_S22_S22_S23_S22_S24_NST_IJLi0ELi1ELi2ELi3ELi4ELi5EEEELi5ELi4EEEDF16_NS5_IJPKDF16_EEEDF16_S8_S8_S9_NSB_INS5_IJSE_SG_SI_SI_SI_SG_SG_SK_SK_SK_SG_SN_SN_SP_SP_SR_SG_SG_NSQ_INS5_IJiNS_17integral_constantIiLi128EEEEEELb0EEENSF_INS2A_IiLi2EEEEEEEENS5_IJSU_SV_SW_SX_SY_SZ_S10_S11_S12_S13_S14_S15_S16_S17_S18_S19_S1A_NST_IJLi23EEEES1J_NST_IJLi24EEEEEEENS5_IJS1C_S10_S11_S12_S13_S14_S1D_S1E_S1F_S1G_S1H_S17_S18_S1A_S19_S1I_S1J_NST_IJLi26EEEENST_IJLi27ELi28EEEENST_IJLi29EEEEEEENST_IJLi26ELi27ELi28ELi29EEEElEENSB_INS5_IJSR_SP_SP_SR_SG_SG_S2D_S2F_EEENS5_IJSU_SV_SW_SY_SX_SZ_S11_S10_EEENS5_IJS1P_SX_SY_S1Q_S11_S12_NST_IJLi9ELi10EEEES1D_EEENST_IJLi8ELi9ELi10ELi11EEEElEENS5_IJNSB_INS5_IJSK_SP_SP_NSQ_INS5_IJiS2E_NS2A_IiLi64EEEEEELb0EEES2Y_EEENS5_IJSU_SV_SW_SX_SY_EEENS5_IJS1P_SX_SY_NST_IJLi5ELi6ELi7EEEENST_IJLi8ELi9ELi10EEEEEEENST_IJLi5ELi6ELi7ELi8ELi9ELi10EEEElEEEEES35_NS_31BlockToCTileMap_M00_N00_M01_N01ILi128ELi128ES1Y_Lb0EEENS1_30ComputePtrOffsetOfStridedBatchILi1ELi1ELi1EvEELb0ELb0EEEvPKT0_S3D_T1_PT2_T3_T4_T5_iT6_T7_T8_T9_T10_T11_
; %bb.0:
	s_load_dwordx8 s[24:31], s[4:5], 0x0
	s_load_dword s8, s[4:5], 0x24
	s_load_dwordx4 s[0:3], s[4:5], 0x3c
	s_load_dword s7, s[4:5], 0x4c
	s_load_dword s33, s[4:5], 0x58
	s_load_dwordx4 s[44:47], s[4:5], 0x54
	s_waitcnt lgkmcnt(0)
	s_abs_i32 s10, s8
	v_cvt_f32_u32_e32 v1, s10
	s_load_dword s45, s[4:5], 0x64
	s_load_dwordx4 s[48:51], s[4:5], 0x60
	s_load_dword s47, s[4:5], 0x70
	s_load_dwordx4 s[52:55], s[4:5], 0x6c
	s_load_dword s9, s[4:5], 0x300
	s_sub_i32 s11, 0, s10
	s_load_dwordx2 s[34:35], s[4:5], 0x88
	s_load_dwordx2 s[76:77], s[4:5], 0x98
	;; [unrolled: 1-line block ×3, first 2 shown]
	v_rcp_iflag_f32_e32 v1, v1
	s_load_dwordx8 s[16:23], s[4:5], 0xb8
	s_load_dwordx4 s[56:59], s[4:5], 0xd8
	s_waitcnt lgkmcnt(0)
	s_xor_b32 s8, s9, s8
	s_abs_i32 s9, s9
	v_mul_f32_e32 v1, 0x4f7ffffe, v1
	v_cvt_u32_f32_e32 v1, v1
	s_ashr_i32 s8, s8, 31
	v_lshrrev_b32_e32 v3, 1, v0
	v_lshlrev_b32_e32 v32, 1, v0
	v_readfirstlane_b32 s12, v1
	s_mul_i32 s11, s11, s12
	s_mul_hi_u32 s11, s12, s11
	s_add_i32 s12, s12, s11
	s_mul_hi_u32 s11, s9, s12
	s_mul_i32 s12, s11, s10
	s_sub_i32 s9, s9, s12
	s_add_i32 s12, s11, 1
	s_sub_i32 s13, s9, s10
	s_cmp_ge_u32 s9, s10
	s_cselect_b32 s11, s12, s11
	s_cselect_b32 s9, s13, s9
	s_add_i32 s12, s11, 1
	s_cmp_ge_u32 s9, s10
	s_cselect_b32 s9, s12, s11
	s_xor_b32 s9, s9, s8
	s_sub_i32 s19, s9, s8
	s_abs_i32 s23, s19
	v_cvt_f32_u32_e32 v1, s23
	s_load_dwordx8 s[8:15], s[4:5], 0xec
	s_load_dwordx4 s[64:67], s[4:5], 0x298
	s_load_dwordx4 s[72:75], s[4:5], 0x2ac
	s_waitcnt lgkmcnt(0)
	s_xor_b32 s11, s6, s19
	s_sub_i32 s19, 0, s23
	v_rcp_iflag_f32_e32 v1, v1
	s_abs_i32 s15, s6
	s_ashr_i32 s11, s11, 31
	s_load_dwordx4 s[68:71], s[4:5], 0x2c0
	s_load_dwordx8 s[36:43], s[4:5], 0x2d8
	v_mul_f32_e32 v1, 0x4f7ffffe, v1
	v_cvt_u32_f32_e32 v1, v1
	v_and_b32_e32 v33, 0x1f8, v32
	v_readfirstlane_b32 s49, v1
	s_mul_i32 s19, s19, s49
	s_mul_hi_u32 s19, s49, s19
	s_add_i32 s49, s49, s19
	s_mul_hi_u32 s19, s15, s49
	s_mul_i32 s49, s19, s23
	s_sub_i32 s15, s15, s49
	s_add_i32 s49, s19, 1
	s_sub_i32 s51, s15, s23
	s_cmp_ge_u32 s15, s23
	s_cselect_b32 s19, s49, s19
	s_cselect_b32 s15, s51, s15
	s_add_i32 s49, s19, 1
	s_cmp_ge_u32 s15, s23
	s_cselect_b32 s15, s49, s19
	s_xor_b32 s15, s15, s11
	s_sub_i32 s11, s15, s11
	s_ashr_i32 s15, s11, 31
	s_waitcnt lgkmcnt(0)
	s_mul_i32 s19, s36, s15
	s_mul_hi_u32 s23, s36, s11
	s_add_i32 s19, s23, s19
	s_mul_i32 s23, s37, s11
	s_add_i32 s61, s19, s23
	s_mul_i32 s19, s38, s15
	s_mul_hi_u32 s23, s38, s11
	s_add_i32 s19, s23, s19
	s_mul_i32 s23, s39, s11
	s_add_i32 s39, s19, s23
	;; [unrolled: 5-line block ×3, first 2 shown]
	s_mul_i32 s15, s40, s15
	s_mul_hi_u32 s19, s40, s11
	s_add_i32 s15, s19, s15
	s_mul_i32 s19, s41, s11
	s_mul_i32 s60, s36, s11
	s_add_i32 s37, s15, s19
	s_mul_i32 s36, s40, s11
	s_lshl_b64 s[36:37], s[36:37], 1
	s_add_u32 s36, s28, s36
	s_addc_u32 s19, s29, s37
	s_lshl_b64 s[28:29], s[60:61], 1
	s_mul_i32 s38, s38, s11
	s_add_u32 s28, s24, s28
	s_addc_u32 s29, s25, s29
	s_lshl_b64 s[24:25], s[38:39], 1
	s_mul_i32 s42, s42, s11
	s_add_u32 s40, s26, s24
	s_addc_u32 s41, s27, s25
	s_lshl_b64 s[24:25], s[42:43], 1
	s_add_u32 s24, s30, s24
	s_addc_u32 s11, s31, s25
	s_load_dwordx4 s[60:63], s[4:5], 0x10c
	s_load_dword s39, s[4:5], 0x120
	s_load_dword s25, s[4:5], 0x12c
	;; [unrolled: 1-line block ×3, first 2 shown]
	v_lshlrev_b32_e32 v1, 3, v0
	s_mul_hi_u32 s15, s75, s6
	v_and_b32_e32 v2, 8, v1
	s_add_i32 s15, s6, s15
	s_waitcnt lgkmcnt(0)
	v_mul_lo_u32 v24, s30, v2
	s_lshr_b32 s23, s15, s71
	s_mul_i32 s15, s23, s67
	s_sub_i32 s49, s6, s15
	s_mul_hi_u32 s6, s23, s74
	s_add_i32 s6, s23, s6
	v_mul_hi_u32 v1, v24, s14
	s_lshr_b32 s31, s6, s70
	s_mul_hi_u32 s6, s31, s73
	s_add_i32 s6, s31, s6
	s_lshr_b32 s51, s6, s69
	s_mul_i32 s53, s31, s66
	v_add_u32_e32 v1, v24, v1
	s_mul_hi_u32 s6, s51, s72
	s_sub_i32 s23, s23, s53
	s_load_dword s53, s[4:5], 0x27c
	v_lshrrev_b32_e32 v1, s62, v1
	s_add_i32 s6, s51, s6
	v_mul_hi_u32 v4, v1, s13
	s_lshr_b32 s6, s6, s68
	s_mul_i32 s59, s6, s64
	s_mul_i32 s55, s51, s65
	s_sub_i32 s51, s51, s59
	s_sub_i32 s31, s31, s55
	s_load_dword s55, s[4:5], 0x28c
	s_waitcnt lgkmcnt(0)
	s_mul_i32 s51, s51, s53
	v_add_u32_e32 v4, v1, v4
	s_add_i32 s23, s23, s51
	v_lshrrev_b32_e32 v4, s61, v4
	s_lshl_b32 s23, s23, 7
	v_mul_lo_u32 v5, v4, s9
	v_or_b32_e32 v25, s23, v3
	v_mul_hi_u32 v6, v25, s22
	v_mul_lo_u32 v7, v1, s10
	v_sub_u32_e32 v1, v1, v5
	v_mul_hi_u32 v5, v4, s12
	v_add_u32_e32 v6, v25, v6
	v_lshrrev_b32_e32 v6, s58, v6
	v_mul_hi_u32 v8, v6, s21
	v_add_u32_e32 v5, v4, v5
	v_lshrrev_b32_e32 v13, s60, v5
	v_mul_lo_u32 v5, v13, s8
	v_add_u32_e32 v8, v6, v8
	v_lshrrev_b32_e32 v9, s57, v8
	v_mul_hi_u32 v10, v9, s20
	v_sub_u32_e32 v8, v4, v5
	v_mul_lo_u32 v4, v6, s18
	v_mul_lo_u32 v5, v9, s17
	v_add_u32_e32 v10, v9, v10
	v_lshrrev_b32_e32 v10, s56, v10
	v_sub_u32_e32 v12, v25, v4
	v_sub_u32_e32 v6, v6, v5
	v_mul_lo_u32 v4, v1, s78
	v_mul_lo_u32 v5, v8, s76
	;; [unrolled: 1-line block ×3, first 2 shown]
	s_load_dword s63, s[4:5], 0x160
	s_load_dword s43, s[4:5], 0x170
	;; [unrolled: 1-line block ×6, first 2 shown]
	s_load_dwordx2 s[26:27], s[4:5], 0x1d0
	s_load_dword s15, s[4:5], 0x1dc
	s_and_b32 s29, s29, 0xffff
	v_mad_u64_u32 v[20:21], s[16:17], v12, s79, v[4:5]
	v_mul_lo_u32 v4, v13, s34
	v_mad_u64_u32 v[21:22], s[16:17], v6, s77, v[5:6]
	v_sub_u32_e32 v9, v9, v11
	v_mad_u64_u32 v[22:23], s[16:17], v9, s35, v[4:5]
	v_sub_u32_e32 v9, v24, v7
	v_subrev_u32_e32 v4, s47, v20
	v_subrev_u32_e32 v5, s45, v21
	v_or_b32_e32 v11, 4, v2
	v_mul_lo_u32 v7, v10, s0
	v_mul_lo_u32 v5, v5, s2
	;; [unrolled: 1-line block ×5, first 2 shown]
	v_subrev_u32_e32 v6, s33, v22
	v_mul_lo_u32 v6, v6, s1
	v_add3_u32 v4, v4, v10, v5
	v_mul_hi_u32 v5, v26, s14
	s_mul_i32 s0, s31, s55
	v_add3_u32 v14, v4, v7, v6
	s_waitcnt lgkmcnt(0)
	s_lshl_b32 s30, s63, 1
	v_add_u32_e32 v4, v26, v5
	v_lshrrev_b32_e32 v15, s62, v4
	v_mul_hi_u32 v10, v15, s13
	s_mov_b32 s31, 0x20000
	v_lshlrev_b32_e32 v4, 1, v14
	buffer_load_dwordx4 v[4:7], v4, s[28:31], 0 offen
	v_add_u32_e32 v10, v15, v10
	v_lshrrev_b32_e32 v16, s61, v10
	v_mul_hi_u32 v12, v16, s12
	v_mad_u64_u32 v[9:10], s[12:13], v15, s10, v[9:10]
	v_mad_u64_u32 v[10:11], s[12:13], v16, s9, v[1:2]
	v_add_u32_e32 v1, v16, v12
	v_lshrrev_b32_e32 v1, s60, v1
	v_mad_u64_u32 v[11:12], s[8:9], v1, s8, v[8:9]
	v_sub_u32_e32 v8, v26, v9
	v_sub_u32_e32 v9, v15, v10
	v_sub_u32_e32 v10, v16, v11
	v_sub_u32_e32 v1, v1, v13
	v_mul_lo_u32 v27, v1, s34
	v_mul_lo_u32 v28, v10, s76
	;; [unrolled: 1-line block ×5, first 2 shown]
	s_add_i32 s49, s49, s0
	v_mul_lo_u32 v10, v27, s1
	v_mul_lo_u32 v11, v28, s2
	v_mad_u64_u32 v[8:9], s[0:1], v29, s3, v[1:2]
	s_lshl_b32 s13, s49, 7
	v_or_b32_e32 v30, s13, v3
	v_mad_u64_u32 v[16:17], s[0:1], v30, s43, v[23:24]
	v_add3_u32 v1, v8, v10, v11
	v_add_lshl_u32 v1, v1, v14, 1
	buffer_load_dwordx4 v[8:11], v1, s[28:31], 0 offen
	s_lshl_b32 s42, s42, 1
	s_and_b32 s41, s41, 0xffff
	s_mov_b32 s43, s31
	v_lshlrev_b32_e32 v1, 1, v16
	buffer_load_dwordx4 v[12:15], v1, s[40:43], 0 offen
	s_lshl_b32 s8, s6, 2
	v_add_lshl_u32 v1, v16, s8, 1
	buffer_load_dwordx4 v[16:19], v1, s[40:43], 0 offen
	s_sub_i32 s9, s52, s54
	v_cmp_gt_i32_e32 vcc, s25, v24
	v_cmp_gt_i32_e64 s[6:7], s9, v20
	v_cmp_le_i32_e64 s[2:3], s47, v20
	s_and_b64 s[6:7], s[6:7], vcc
	s_sub_i32 s10, s48, s50
	s_and_b64 s[6:7], s[6:7], s[2:3]
	v_cmp_le_i32_e32 vcc, s45, v21
	v_cmp_gt_i32_e64 s[2:3], s10, v21
	s_and_b64 s[2:3], vcc, s[2:3]
	s_sub_i32 s12, s44, s46
	s_and_b64 s[6:7], s[6:7], s[2:3]
	v_cmp_le_i32_e32 vcc, s33, v22
	v_cmp_gt_i32_e64 s[2:3], s12, v22
	s_and_b64 s[2:3], vcc, s[2:3]
	v_cmp_gt_i32_e64 s[0:1], s39, v25
	s_and_b64 s[2:3], s[6:7], s[2:3]
	s_and_b64 vcc, s[0:1], s[2:3]
	v_add_u32_e32 v20, v20, v29
	v_cmp_gt_i32_e64 s[6:7], s9, v20
	v_add_u32_e32 v21, v21, v28
	v_cmp_le_i32_e64 s[2:3], s47, v20
	v_add_u32_e32 v22, v22, v27
	v_lshrrev_b32_e32 v1, 5, v0
	v_lshlrev_b32_e32 v31, 6, v1
	v_add_u32_e32 v20, s8, v23
	v_sub_u32_e32 v31, v33, v31
	v_lshlrev_b32_e32 v0, 2, v0
	v_lshlrev_b32_e32 v1, 3, v1
	;; [unrolled: 1-line block ×3, first 2 shown]
	v_and_or_b32 v0, v0, 4, v31
	v_and_or_b32 v1, v32, 4, v1
	v_lshl_or_b32 v2, v2, 9, v3
	v_lshlrev_b32_e32 v3, 2, v0
	s_mov_b32 s39, s31
	s_waitcnt vmcnt(3)
	v_cndmask_b32_e32 v7, 0, v7, vcc
	v_cndmask_b32_e32 v6, 0, v6, vcc
	v_cndmask_b32_e32 v5, 0, v5, vcc
	v_cndmask_b32_e32 v4, 0, v4, vcc
	v_cmp_gt_i32_e32 vcc, s25, v26
	s_and_b64 s[6:7], s[6:7], vcc
	s_and_b64 s[6:7], s[6:7], s[2:3]
	v_cmp_le_i32_e32 vcc, s45, v21
	v_cmp_gt_i32_e64 s[2:3], s10, v21
	s_and_b64 s[2:3], vcc, s[2:3]
	s_and_b64 s[6:7], s[6:7], s[2:3]
	v_cmp_le_i32_e32 vcc, s33, v22
	v_cmp_gt_i32_e64 s[2:3], s12, v22
	s_and_b64 s[2:3], vcc, s[2:3]
	s_and_b64 s[2:3], s[6:7], s[2:3]
	s_and_b64 vcc, s[0:1], s[2:3]
	v_cmp_gt_i32_e64 s[0:1], s38, v30
	s_and_b32 s25, s11, 0xffff
	s_waitcnt vmcnt(2)
	v_cndmask_b32_e32 v11, 0, v11, vcc
	v_cndmask_b32_e32 v10, 0, v10, vcc
	;; [unrolled: 1-line block ×4, first 2 shown]
	v_cmp_gt_i32_e32 vcc, s37, v23
	s_and_b64 vcc, vcc, s[0:1]
	s_waitcnt vmcnt(1)
	v_cndmask_b32_e32 v15, 0, v15, vcc
	v_cndmask_b32_e32 v14, 0, v14, vcc
	;; [unrolled: 1-line block ×4, first 2 shown]
	v_cmp_gt_i32_e32 vcc, s37, v20
	s_and_b64 vcc, vcc, s[0:1]
	s_waitcnt vmcnt(0)
	v_cndmask_b32_e32 v19, 0, v19, vcc
	v_cndmask_b32_e32 v18, 0, v18, vcc
	;; [unrolled: 1-line block ×4, first 2 shown]
	ds_write2st64_b32 v2, v4, v5 offset1:2
	ds_write2st64_b32 v2, v6, v7 offset0:4 offset1:6
	ds_write2st64_b32 v2, v8, v9 offset0:8 offset1:10
	;; [unrolled: 1-line block ×7, first 2 shown]
	v_lshlrev_b32_e32 v2, 2, v1
	s_waitcnt lgkmcnt(0)
	s_barrier
	ds_read_b128 v[4:7], v2
	ds_read_b128 v[8:11], v3 offset:16384
	s_load_dword s12, s[4:5], 0x1e8
	s_load_dword s0, s[4:5], 0x210
	s_load_dwordx2 s[6:7], s[4:5], 0x220
	s_load_dword s8, s[4:5], 0x22c
	s_load_dword s9, s[4:5], 0x238
	;; [unrolled: 1-line block ×3, first 2 shown]
	ds_read_b128 v[12:15], v3 offset:16640
	ds_read_b128 v[16:19], v2 offset:256
	s_waitcnt lgkmcnt(0)
	s_lshl_b32 s38, s0, 1
	s_and_b32 s37, s19, 0xffff
	v_dot2_f32_f16 v20, v4, v8, 0
	v_dot2_f32_f16 v21, v4, v9, 0
	;; [unrolled: 1-line block ×32, first 2 shown]
	ds_read_b128 v[4:7], v2 offset:512
	v_dot2_f32_f16 v52, v16, v8, 0
	v_dot2_f32_f16 v53, v16, v9, 0
	;; [unrolled: 1-line block ×16, first 2 shown]
	ds_read_b128 v[8:11], v3 offset:16896
	v_dot2_f32_f16 v68, v16, v12, 0
	v_dot2_f32_f16 v69, v16, v13, 0
	;; [unrolled: 1-line block ×16, first 2 shown]
	ds_read_b128 v[12:15], v3 offset:17152
	ds_read_b128 v[16:19], v2 offset:768
	s_waitcnt lgkmcnt(2)
	v_dot2_f32_f16 v20, v4, v8, v20
	v_dot2_f32_f16 v21, v4, v9, v21
	v_dot2_f32_f16 v22, v4, v10, v22
	v_dot2_f32_f16 v23, v4, v11, v23
	v_dot2_f32_f16 v24, v5, v8, v24
	v_dot2_f32_f16 v25, v5, v9, v25
	v_dot2_f32_f16 v26, v5, v10, v26
	v_dot2_f32_f16 v27, v5, v11, v27
	v_dot2_f32_f16 v28, v6, v8, v28
	v_dot2_f32_f16 v29, v6, v9, v29
	v_dot2_f32_f16 v30, v6, v10, v30
	v_dot2_f32_f16 v31, v6, v11, v31
	v_dot2_f32_f16 v32, v7, v8, v32
	v_dot2_f32_f16 v33, v7, v9, v33
	v_dot2_f32_f16 v34, v7, v10, v34
	v_dot2_f32_f16 v35, v7, v11, v35
	s_waitcnt lgkmcnt(1)
	v_dot2_f32_f16 v36, v4, v12, v36
	v_dot2_f32_f16 v37, v4, v13, v37
	;; [unrolled: 1-line block ×16, first 2 shown]
	ds_read_b128 v[4:7], v2 offset:1024
	s_waitcnt lgkmcnt(1)
	v_dot2_f32_f16 v52, v16, v8, v52
	v_dot2_f32_f16 v53, v16, v9, v53
	;; [unrolled: 1-line block ×16, first 2 shown]
	ds_read_b128 v[8:11], v3 offset:17408
	v_dot2_f32_f16 v68, v16, v12, v68
	v_dot2_f32_f16 v69, v16, v13, v69
	;; [unrolled: 1-line block ×16, first 2 shown]
	ds_read_b128 v[12:15], v3 offset:17664
	ds_read_b128 v[16:19], v2 offset:1280
	s_waitcnt lgkmcnt(2)
	v_dot2_f32_f16 v20, v4, v8, v20
	v_dot2_f32_f16 v21, v4, v9, v21
	;; [unrolled: 1-line block ×16, first 2 shown]
	s_waitcnt lgkmcnt(1)
	v_dot2_f32_f16 v36, v4, v12, v36
	v_dot2_f32_f16 v37, v4, v13, v37
	;; [unrolled: 1-line block ×16, first 2 shown]
	ds_read_b128 v[4:7], v2 offset:1536
	s_waitcnt lgkmcnt(1)
	v_dot2_f32_f16 v52, v16, v8, v52
	v_dot2_f32_f16 v53, v16, v9, v53
	;; [unrolled: 1-line block ×16, first 2 shown]
	ds_read_b128 v[8:11], v3 offset:17920
	v_dot2_f32_f16 v68, v16, v12, v68
	v_dot2_f32_f16 v69, v16, v13, v69
	;; [unrolled: 1-line block ×16, first 2 shown]
	ds_read_b128 v[12:15], v3 offset:18176
	ds_read_b128 v[16:19], v2 offset:1792
	s_waitcnt lgkmcnt(2)
	v_dot2_f32_f16 v20, v4, v8, v20
	v_dot2_f32_f16 v21, v4, v9, v21
	;; [unrolled: 1-line block ×16, first 2 shown]
	s_waitcnt lgkmcnt(1)
	v_dot2_f32_f16 v36, v4, v12, v36
	v_dot2_f32_f16 v37, v4, v13, v37
	;; [unrolled: 1-line block ×16, first 2 shown]
	ds_read_b128 v[4:7], v2 offset:2048
	s_waitcnt lgkmcnt(1)
	v_dot2_f32_f16 v52, v16, v8, v52
	v_dot2_f32_f16 v53, v16, v9, v53
	;; [unrolled: 1-line block ×16, first 2 shown]
	ds_read_b128 v[8:11], v3 offset:18432
	v_dot2_f32_f16 v68, v16, v12, v68
	v_dot2_f32_f16 v69, v16, v13, v69
	;; [unrolled: 1-line block ×16, first 2 shown]
	ds_read_b128 v[12:15], v3 offset:18688
	ds_read_b128 v[16:19], v2 offset:2304
	s_waitcnt lgkmcnt(2)
	v_dot2_f32_f16 v20, v4, v8, v20
	v_dot2_f32_f16 v21, v4, v9, v21
	;; [unrolled: 1-line block ×16, first 2 shown]
	s_waitcnt lgkmcnt(1)
	v_dot2_f32_f16 v36, v4, v12, v36
	v_dot2_f32_f16 v37, v4, v13, v37
	;; [unrolled: 1-line block ×16, first 2 shown]
	ds_read_b128 v[4:7], v2 offset:2560
	s_waitcnt lgkmcnt(1)
	v_dot2_f32_f16 v52, v16, v8, v52
	v_dot2_f32_f16 v53, v16, v9, v53
	;; [unrolled: 1-line block ×16, first 2 shown]
	ds_read_b128 v[8:11], v3 offset:18944
	v_dot2_f32_f16 v68, v16, v12, v68
	v_dot2_f32_f16 v69, v16, v13, v69
	;; [unrolled: 1-line block ×16, first 2 shown]
	ds_read_b128 v[12:15], v3 offset:19200
	ds_read_b128 v[16:19], v2 offset:2816
	s_waitcnt lgkmcnt(2)
	v_dot2_f32_f16 v20, v4, v8, v20
	v_dot2_f32_f16 v21, v4, v9, v21
	;; [unrolled: 1-line block ×16, first 2 shown]
	s_waitcnt lgkmcnt(1)
	v_dot2_f32_f16 v36, v4, v12, v36
	v_dot2_f32_f16 v37, v4, v13, v37
	;; [unrolled: 1-line block ×16, first 2 shown]
	ds_read_b128 v[4:7], v2 offset:3072
	s_waitcnt lgkmcnt(1)
	v_dot2_f32_f16 v52, v16, v8, v52
	v_dot2_f32_f16 v53, v16, v9, v53
	;; [unrolled: 1-line block ×16, first 2 shown]
	ds_read_b128 v[8:11], v3 offset:19456
	v_dot2_f32_f16 v68, v16, v12, v68
	v_dot2_f32_f16 v69, v16, v13, v69
	;; [unrolled: 1-line block ×16, first 2 shown]
	ds_read_b128 v[12:15], v3 offset:19712
	ds_read_b128 v[16:19], v2 offset:3328
	s_waitcnt lgkmcnt(2)
	v_dot2_f32_f16 v20, v4, v8, v20
	v_dot2_f32_f16 v21, v4, v9, v21
	;; [unrolled: 1-line block ×16, first 2 shown]
	s_waitcnt lgkmcnt(1)
	v_dot2_f32_f16 v36, v4, v12, v36
	v_dot2_f32_f16 v37, v4, v13, v37
	;; [unrolled: 1-line block ×16, first 2 shown]
	ds_read_b128 v[4:7], v2 offset:3584
	s_waitcnt lgkmcnt(1)
	v_dot2_f32_f16 v52, v16, v8, v52
	v_dot2_f32_f16 v53, v16, v9, v53
	;; [unrolled: 1-line block ×16, first 2 shown]
	ds_read_b128 v[8:11], v3 offset:19968
	v_dot2_f32_f16 v68, v16, v12, v68
	v_dot2_f32_f16 v69, v16, v13, v69
	;; [unrolled: 1-line block ×16, first 2 shown]
	ds_read_b128 v[12:15], v3 offset:20224
	ds_read_b128 v[16:19], v2 offset:3840
	s_waitcnt lgkmcnt(2)
	v_dot2_f32_f16 v20, v4, v8, v20
	v_dot2_f32_f16 v21, v4, v9, v21
	;; [unrolled: 1-line block ×16, first 2 shown]
	s_waitcnt lgkmcnt(1)
	v_dot2_f32_f16 v36, v4, v12, v36
	v_dot2_f32_f16 v37, v4, v13, v37
	;; [unrolled: 1-line block ×16, first 2 shown]
	ds_read_b128 v[4:7], v2 offset:4096
	s_waitcnt lgkmcnt(1)
	v_dot2_f32_f16 v52, v16, v8, v52
	v_dot2_f32_f16 v53, v16, v9, v53
	;; [unrolled: 1-line block ×16, first 2 shown]
	ds_read_b128 v[8:11], v3 offset:20480
	v_dot2_f32_f16 v68, v16, v12, v68
	v_dot2_f32_f16 v69, v16, v13, v69
	;; [unrolled: 1-line block ×16, first 2 shown]
	ds_read_b128 v[12:15], v3 offset:20736
	ds_read_b128 v[16:19], v2 offset:4352
	s_waitcnt lgkmcnt(2)
	v_dot2_f32_f16 v20, v4, v8, v20
	v_dot2_f32_f16 v21, v4, v9, v21
	;; [unrolled: 1-line block ×16, first 2 shown]
	s_waitcnt lgkmcnt(1)
	v_dot2_f32_f16 v36, v4, v12, v36
	v_dot2_f32_f16 v37, v4, v13, v37
	;; [unrolled: 1-line block ×16, first 2 shown]
	ds_read_b128 v[4:7], v2 offset:4608
	s_waitcnt lgkmcnt(1)
	v_dot2_f32_f16 v52, v16, v8, v52
	v_dot2_f32_f16 v53, v16, v9, v53
	;; [unrolled: 1-line block ×16, first 2 shown]
	ds_read_b128 v[8:11], v3 offset:20992
	v_dot2_f32_f16 v68, v16, v12, v68
	v_dot2_f32_f16 v69, v16, v13, v69
	;; [unrolled: 1-line block ×16, first 2 shown]
	ds_read_b128 v[12:15], v3 offset:21248
	ds_read_b128 v[16:19], v2 offset:4864
	s_waitcnt lgkmcnt(2)
	v_dot2_f32_f16 v20, v4, v8, v20
	v_dot2_f32_f16 v21, v4, v9, v21
	;; [unrolled: 1-line block ×16, first 2 shown]
	s_waitcnt lgkmcnt(1)
	v_dot2_f32_f16 v36, v4, v12, v36
	v_dot2_f32_f16 v37, v4, v13, v37
	;; [unrolled: 1-line block ×16, first 2 shown]
	ds_read_b128 v[4:7], v2 offset:5120
	s_waitcnt lgkmcnt(1)
	v_dot2_f32_f16 v52, v16, v8, v52
	v_dot2_f32_f16 v53, v16, v9, v53
	v_dot2_f32_f16 v54, v16, v10, v54
	v_dot2_f32_f16 v55, v16, v11, v55
	v_dot2_f32_f16 v56, v17, v8, v56
	v_dot2_f32_f16 v57, v17, v9, v57
	v_dot2_f32_f16 v58, v17, v10, v58
	v_dot2_f32_f16 v59, v17, v11, v59
	v_dot2_f32_f16 v60, v18, v8, v60
	v_dot2_f32_f16 v61, v18, v9, v61
	v_dot2_f32_f16 v62, v18, v10, v62
	v_dot2_f32_f16 v63, v18, v11, v63
	v_dot2_f32_f16 v64, v19, v8, v64
	v_dot2_f32_f16 v65, v19, v9, v65
	v_dot2_f32_f16 v66, v19, v10, v66
	v_dot2_f32_f16 v67, v19, v11, v67
	ds_read_b128 v[8:11], v3 offset:21504
	v_dot2_f32_f16 v68, v16, v12, v68
	v_dot2_f32_f16 v69, v16, v13, v69
	;; [unrolled: 1-line block ×16, first 2 shown]
	ds_read_b128 v[12:15], v3 offset:21760
	ds_read_b128 v[16:19], v2 offset:5376
	s_waitcnt lgkmcnt(2)
	v_dot2_f32_f16 v20, v4, v8, v20
	v_dot2_f32_f16 v21, v4, v9, v21
	;; [unrolled: 1-line block ×16, first 2 shown]
	s_waitcnt lgkmcnt(1)
	v_dot2_f32_f16 v36, v4, v12, v36
	v_dot2_f32_f16 v37, v4, v13, v37
	;; [unrolled: 1-line block ×16, first 2 shown]
	ds_read_b128 v[4:7], v2 offset:5632
	s_waitcnt lgkmcnt(1)
	v_dot2_f32_f16 v52, v16, v8, v52
	v_dot2_f32_f16 v53, v16, v9, v53
	v_dot2_f32_f16 v54, v16, v10, v54
	v_dot2_f32_f16 v55, v16, v11, v55
	v_dot2_f32_f16 v56, v17, v8, v56
	v_dot2_f32_f16 v57, v17, v9, v57
	v_dot2_f32_f16 v58, v17, v10, v58
	v_dot2_f32_f16 v59, v17, v11, v59
	v_dot2_f32_f16 v60, v18, v8, v60
	v_dot2_f32_f16 v61, v18, v9, v61
	v_dot2_f32_f16 v62, v18, v10, v62
	v_dot2_f32_f16 v63, v18, v11, v63
	v_dot2_f32_f16 v64, v19, v8, v64
	v_dot2_f32_f16 v65, v19, v9, v65
	v_dot2_f32_f16 v66, v19, v10, v66
	v_dot2_f32_f16 v67, v19, v11, v67
	ds_read_b128 v[8:11], v3 offset:22016
	v_dot2_f32_f16 v68, v16, v12, v68
	v_dot2_f32_f16 v69, v16, v13, v69
	;; [unrolled: 1-line block ×16, first 2 shown]
	ds_read_b128 v[12:15], v3 offset:22272
	ds_read_b128 v[16:19], v2 offset:5888
	s_waitcnt lgkmcnt(2)
	v_dot2_f32_f16 v20, v4, v8, v20
	v_dot2_f32_f16 v21, v4, v9, v21
	;; [unrolled: 1-line block ×16, first 2 shown]
	s_waitcnt lgkmcnt(1)
	v_dot2_f32_f16 v36, v4, v12, v36
	v_dot2_f32_f16 v37, v4, v13, v37
	;; [unrolled: 1-line block ×16, first 2 shown]
	ds_read_b128 v[4:7], v2 offset:6144
	s_waitcnt lgkmcnt(1)
	v_dot2_f32_f16 v52, v16, v8, v52
	v_dot2_f32_f16 v53, v16, v9, v53
	;; [unrolled: 1-line block ×16, first 2 shown]
	ds_read_b128 v[8:11], v3 offset:22528
	v_dot2_f32_f16 v68, v16, v12, v68
	v_dot2_f32_f16 v69, v16, v13, v69
	;; [unrolled: 1-line block ×16, first 2 shown]
	ds_read_b128 v[12:15], v3 offset:22784
	ds_read_b128 v[16:19], v2 offset:6400
	s_waitcnt lgkmcnt(2)
	v_dot2_f32_f16 v20, v4, v8, v20
	v_dot2_f32_f16 v21, v4, v9, v21
	;; [unrolled: 1-line block ×16, first 2 shown]
	s_waitcnt lgkmcnt(1)
	v_dot2_f32_f16 v36, v4, v12, v36
	v_dot2_f32_f16 v37, v4, v13, v37
	v_dot2_f32_f16 v38, v4, v14, v38
	v_dot2_f32_f16 v39, v4, v15, v39
	v_dot2_f32_f16 v40, v5, v12, v40
	v_dot2_f32_f16 v41, v5, v13, v41
	v_dot2_f32_f16 v42, v5, v14, v42
	v_dot2_f32_f16 v43, v5, v15, v43
	v_dot2_f32_f16 v44, v6, v12, v44
	v_dot2_f32_f16 v45, v6, v13, v45
	v_dot2_f32_f16 v46, v6, v14, v46
	v_dot2_f32_f16 v47, v6, v15, v47
	v_dot2_f32_f16 v48, v7, v12, v48
	v_dot2_f32_f16 v49, v7, v13, v49
	v_dot2_f32_f16 v50, v7, v14, v50
	v_dot2_f32_f16 v51, v7, v15, v51
	ds_read_b128 v[4:7], v2 offset:6656
	s_waitcnt lgkmcnt(1)
	v_dot2_f32_f16 v52, v16, v8, v52
	v_dot2_f32_f16 v53, v16, v9, v53
	;; [unrolled: 1-line block ×16, first 2 shown]
	ds_read_b128 v[8:11], v3 offset:23040
	v_dot2_f32_f16 v68, v16, v12, v68
	v_dot2_f32_f16 v69, v16, v13, v69
	;; [unrolled: 1-line block ×16, first 2 shown]
	ds_read_b128 v[12:15], v3 offset:23296
	ds_read_b128 v[16:19], v2 offset:6912
	s_waitcnt lgkmcnt(2)
	v_dot2_f32_f16 v20, v4, v8, v20
	v_dot2_f32_f16 v21, v4, v9, v21
	;; [unrolled: 1-line block ×16, first 2 shown]
	s_waitcnt lgkmcnt(1)
	v_dot2_f32_f16 v36, v4, v12, v36
	v_dot2_f32_f16 v37, v4, v13, v37
	;; [unrolled: 1-line block ×16, first 2 shown]
	ds_read_b128 v[4:7], v2 offset:7168
	s_waitcnt lgkmcnt(1)
	v_dot2_f32_f16 v52, v16, v8, v52
	v_dot2_f32_f16 v53, v16, v9, v53
	;; [unrolled: 1-line block ×16, first 2 shown]
	ds_read_b128 v[8:11], v3 offset:23552
	v_dot2_f32_f16 v68, v16, v12, v68
	v_dot2_f32_f16 v69, v16, v13, v69
	;; [unrolled: 1-line block ×4, first 2 shown]
	s_waitcnt lgkmcnt(0)
	v_dot2_f32_f16 v84, v6, v11, v31
	v_or_b32_e32 v31, s23, v1
	v_dot2_f32_f16 v72, v17, v12, v72
	v_dot2_f32_f16 v73, v17, v13, v73
	;; [unrolled: 1-line block ×12, first 2 shown]
	ds_read_b128 v[12:15], v3 offset:23808
	ds_read_b128 v[16:19], v2 offset:7424
	v_mul_lo_u32 v1, v31, s26
	v_dot2_f32_f16 v85, v7, v10, v34
	v_add_u32_e32 v34, s13, v0
	v_dot2_f32_f16 v20, v4, v8, v20
	v_dot2_f32_f16 v21, v4, v9, v21
	;; [unrolled: 1-line block ×14, first 2 shown]
	s_waitcnt lgkmcnt(1)
	v_dot2_f32_f16 v86, v4, v12, v36
	v_dot2_f32_f16 v37, v4, v13, v37
	;; [unrolled: 1-line block ×16, first 2 shown]
	ds_read_b128 v[4:7], v2 offset:7680
	ds_read_b128 v[44:47], v3 offset:24064
	v_mad_u64_u32 v[0:1], s[2:3], v34, s27, v[1:2]
	s_waitcnt lgkmcnt(2)
	v_dot2_f32_f16 v95, v16, v8, v52
	v_dot2_f32_f16 v96, v16, v9, v53
	v_lshlrev_b32_e32 v1, 1, v0
	v_dot2_f32_f16 v97, v16, v10, v54
	v_dot2_f32_f16 v98, v16, v11, v55
	;; [unrolled: 1-line block ×6, first 2 shown]
	ds_read_b128 v[52:55], v3 offset:24320
	ds_read_b128 v[61:64], v2 offset:7936
	s_waitcnt lgkmcnt(2)
	v_dot2_f32_f16 v109, v4, v44, v20
	v_dot2_f32_f16 v110, v4, v45, v21
	buffer_load_dwordx2 v[20:21], v1, s[36:39], 0 offen
	v_dot2_f32_f16 v57, v17, v9, v57
	v_add_u32_e32 v2, s26, v0
	v_dot2_f32_f16 v111, v5, v44, v24
	v_dot2_f32_f16 v24, v5, v46, v26
	s_lshl_b32 s13, s27, 6
	v_dot2_f32_f16 v26, v7, v45, v33
	s_waitcnt lgkmcnt(1)
	v_dot2_f32_f16 v33, v5, v55, v43
	s_waitcnt lgkmcnt(0)
	v_dot2_f32_f16 v43, v62, v45, v57
	v_add_u32_e32 v57, s26, v2
	v_dot2_f32_f16 v68, v16, v12, v68
	v_dot2_f32_f16 v72, v17, v12, v72
	;; [unrolled: 1-line block ×4, first 2 shown]
	v_add_lshl_u32 v12, v57, s13, 1
	v_dot2_f32_f16 v58, v17, v10, v58
	v_dot2_f32_f16 v65, v19, v9, v65
	;; [unrolled: 1-line block ×9, first 2 shown]
	buffer_load_dwordx2 v[84:85], v12, s[36:39], 0 offen
	v_add_lshl_u32 v1, v0, s13, 1
	buffer_load_dwordx2 v[48:49], v1, s[36:39], 0 offen
	v_lshlrev_b32_e32 v0, 1, v2
	v_dot2_f32_f16 v103, v16, v14, v70
	v_dot2_f32_f16 v104, v16, v15, v71
	buffer_load_dwordx2 v[70:71], v0, s[36:39], 0 offen
	v_add_lshl_u32 v0, v2, s13, 1
	v_dot2_f32_f16 v105, v18, v13, v77
	v_dot2_f32_f16 v106, v18, v14, v78
	buffer_load_dwordx2 v[77:78], v0, s[36:39], 0 offen
	v_lshlrev_b32_e32 v2, 1, v57
	buffer_load_dwordx2 v[82:83], v2, s[36:39], 0 offen
	v_dot2_f32_f16 v60, v18, v8, v60
	v_dot2_f32_f16 v56, v17, v8, v56
	;; [unrolled: 1-line block ×17, first 2 shown]
	v_add_u32_e32 v45, s26, v57
	v_dot2_f32_f16 v41, v4, v47, v23
	v_dot2_f32_f16 v25, v5, v47, v27
	;; [unrolled: 1-line block ×11, first 2 shown]
	v_lshlrev_b32_e32 v47, 1, v45
	v_dot2_f32_f16 v114, v4, v52, v86
	buffer_load_dwordx2 v[86:87], v47, s[36:39], 0 offen
	v_dot2_f32_f16 v113, v6, v44, v28
	v_dot2_f32_f16 v115, v4, v53, v37
	;; [unrolled: 1-line block ×13, first 2 shown]
	v_add_lshl_u32 v53, v45, s13, 1
	v_dot2_f32_f16 v118, v6, v52, v89
	buffer_load_dwordx2 v[88:89], v53, s[36:39], 0 offen
	v_cmp_gt_i32_e32 vcc, s12, v34
	v_cmp_gt_i32_e64 s[2:3], s15, v31
	s_and_b64 s[0:1], s[2:3], vcc
	s_waitcnt vmcnt(7)
	v_cndmask_b32_e64 v73, 0, v21, s[0:1]
	v_cndmask_b32_e64 v21, 0, v20, s[0:1]
	v_cvt_f32_f16_e32 v47, v21
	v_dot2_f32_f16 v40, v4, v46, v22
	v_dot2_f32_f16 v38, v4, v54, v38
	;; [unrolled: 1-line block ×10, first 2 shown]
	v_cvt_f32_f16_sdwa v52, v21 dst_sel:DWORD dst_unused:UNUSED_PAD src0_sel:WORD_1
	v_add_f32_e32 v47, v109, v47
	v_dot2_f32_f16 v7, v62, v55, v75
	v_max_f32_e32 v75, 0, v47
	v_add_f32_e32 v47, v110, v52
	v_add_u32_e32 v52, 64, v34
	v_cmp_gt_i32_e64 s[0:1], s12, v52
	s_and_b64 s[2:3], s[2:3], s[0:1]
	v_dot2_f32_f16 v12, v63, v54, v106
	v_dot2_f32_f16 v13, v63, v55, v79
	s_waitcnt vmcnt(5)
	v_cndmask_b32_e64 v63, 0, v49, s[2:3]
	v_cndmask_b32_e64 v49, 0, v48, s[2:3]
	v_cvt_f32_f16_e32 v53, v49
	v_max_f32_e32 v80, 0, v47
	v_mad_u64_u32 v[47:48], s[2:3], s26, 61, v[45:46]
	v_add_f32_e32 v45, v114, v53
	v_dot2_f32_f16 v22, v6, v54, v91
	v_dot2_f32_f16 v23, v6, v55, v92
	;; [unrolled: 1-line block ×3, first 2 shown]
	v_cvt_f32_f16_sdwa v53, v49 dst_sel:DWORD dst_unused:UNUSED_PAD src0_sel:WORD_1
	v_max_f32_e32 v74, 0, v45
	v_lshlrev_b32_e32 v45, 1, v47
	buffer_load_dwordx2 v[48:49], v45, s[36:39], 0 offen
	v_or_b32_e32 v59, 1, v31
	v_cmp_gt_i32_e64 s[2:3], s15, v59
	s_and_b64 s[4:5], s[2:3], vcc
	v_add_lshl_u32 v57, v47, s13, 1
	buffer_load_dwordx2 v[90:91], v57, s[36:39], 0 offen
	v_add_f32_e32 v45, v115, v53
	s_waitcnt vmcnt(6)
	v_cndmask_b32_e64 v53, 0, v70, s[4:5]
	v_dot2_f32_f16 v3, v61, v55, v104
	v_dot2_f32_f16 v21, v64, v55, v108
	v_cvt_f32_f16_e32 v55, v53
	v_max_f32_e32 v81, 0, v45
	s_and_b64 s[2:3], s[2:3], s[0:1]
	v_add_u32_e32 v47, s26, v47
	v_add_f32_e32 v45, v111, v55
	v_max_f32_e32 v62, 0, v45
	v_cvt_f32_f16_sdwa v45, v53 dst_sel:DWORD dst_unused:UNUSED_PAD src0_sel:WORD_1
	s_waitcnt vmcnt(5)
	v_cndmask_b32_e64 v53, 0, v77, s[2:3]
	v_cvt_f32_f16_e32 v55, v53
	v_lshlrev_b32_e32 v57, 1, v47
	buffer_load_dwordx2 v[92:93], v57, s[36:39], 0 offen
	v_add_f32_e32 v45, v112, v45
	v_max_f32_e32 v72, 0, v45
	v_add_f32_e32 v45, v116, v55
	v_cvt_f32_f16_sdwa v53, v53 dst_sel:DWORD dst_unused:UNUSED_PAD src0_sel:WORD_1
	v_or_b32_e32 v55, 2, v31
	v_cndmask_b32_e64 v76, 0, v78, s[2:3]
	v_cmp_gt_i32_e64 s[2:3], s15, v55
	v_add_lshl_u32 v57, v47, s13, 1
	v_dot2_f32_f16 v2, v61, v54, v103
	v_dot2_f32_f16 v20, v64, v54, v107
	v_cndmask_b32_e64 v54, 0, v71, s[4:5]
	buffer_load_dwordx2 v[94:95], v57, s[36:39], 0 offen
	s_and_b64 s[4:5], s[2:3], vcc
	s_waitcnt vmcnt(6)
	v_cndmask_b32_e64 v57, 0, v82, s[4:5]
	v_max_f32_e32 v99, 0, v45
	v_add_f32_e32 v45, v117, v53
	v_cvt_f32_f16_sdwa v53, v57 dst_sel:DWORD dst_unused:UNUSED_PAD src0_sel:WORD_1
	v_cvt_f32_f16_e32 v61, v57
	v_add_u32_e32 v47, s26, v47
	v_max_f32_e32 v100, 0, v45
	v_add_f32_e32 v36, v36, v53
	v_add_f32_e32 v45, v113, v61
	v_lshlrev_b32_e32 v57, 1, v47
	s_and_b64 s[2:3], s[2:3], s[0:1]
	v_max_f32_e32 v79, 0, v36
	v_add_lshl_u32 v36, v47, s13, 1
	v_cndmask_b32_e64 v67, 0, v83, s[4:5]
	buffer_load_dwordx2 v[96:97], v57, s[36:39], 0 offen
	v_max_f32_e32 v78, 0, v45
	v_cndmask_b32_e64 v45, 0, v84, s[2:3]
	buffer_load_dwordx2 v[83:84], v36, s[36:39], 0 offen
	v_or_b32_e32 v57, 3, v31
	v_cndmask_b32_e64 v65, 0, v85, s[2:3]
	v_cmp_gt_i32_e64 s[2:3], s15, v57
	v_add_u32_e32 v47, s26, v47
	s_and_b64 s[4:5], s[2:3], vcc
	v_lshlrev_b32_e32 v70, 1, v47
	v_cvt_f32_f16_e32 v53, v45
	s_waitcnt vmcnt(7)
	v_cndmask_b32_e64 v61, 0, v86, s[4:5]
	buffer_load_dwordx2 v[85:86], v70, s[36:39], 0 offen
	v_cvt_f32_f16_sdwa v45, v45 dst_sel:DWORD dst_unused:UNUSED_PAD src0_sel:WORD_1
	v_add_f32_e32 v36, v118, v53
	s_and_b64 s[2:3], s[2:3], s[0:1]
	v_add_lshl_u32 v47, v47, s13, 1
	v_cndmask_b32_e64 v53, 0, v87, s[4:5]
	v_max_f32_e32 v82, 0, v36
	v_add_f32_e32 v36, v119, v45
	s_waitcnt vmcnt(7)
	v_cndmask_b32_e64 v45, 0, v88, s[2:3]
	buffer_load_dwordx2 v[87:88], v47, s[36:39], 0 offen
	v_max_f32_e32 v101, 0, v36
	v_cvt_f32_f16_sdwa v36, v61 dst_sel:DWORD dst_unused:UNUSED_PAD src0_sel:WORD_1
	v_cvt_f32_f16_e32 v47, v45
	v_cndmask_b32_e64 v77, 0, v89, s[2:3]
	v_cvt_f32_f16_e32 v64, v61
	v_add_f32_e32 v26, v26, v36
	v_max_f32_e32 v71, 0, v26
	v_or_b32_e32 v26, 64, v31
	v_cmp_gt_i32_e64 s[2:3], s15, v26
	s_and_b64 s[4:5], s[2:3], vcc
	v_cvt_f32_f16_sdwa v36, v45 dst_sel:DWORD dst_unused:UNUSED_PAD src0_sel:WORD_1
	s_waitcnt vmcnt(7)
	v_cndmask_b32_e64 v45, 0, v48, s[4:5]
	v_add_f32_e32 v35, v35, v47
	v_cvt_f32_f16_e32 v47, v45
	v_add_f32_e32 v28, v28, v36
	v_max_f32_e32 v102, 0, v28
	s_and_b64 s[2:3], s[2:3], s[0:1]
	v_add_f32_e32 v28, v29, v47
	v_cvt_f32_f16_sdwa v29, v45 dst_sel:DWORD dst_unused:UNUSED_PAD src0_sel:WORD_1
	v_add_f32_e32 v27, v27, v64
	v_max_f32_e32 v89, 0, v35
	s_waitcnt vmcnt(6)
	v_cndmask_b32_e64 v35, 0, v91, s[2:3]
	v_add_f32_e32 v29, v30, v29
	v_or_b32_e32 v30, 0x41, v31
	v_cndmask_b32_e64 v36, 0, v90, s[2:3]
	v_cmp_gt_i32_e64 s[2:3], s15, v30
	v_max_f32_e32 v70, 0, v27
	v_cndmask_b32_e64 v27, 0, v49, s[4:5]
	s_and_b64 s[4:5], s[2:3], vcc
	v_cvt_f32_f16_e32 v45, v36
	v_cvt_f32_f16_sdwa v48, v36 dst_sel:DWORD dst_unused:UNUSED_PAD src0_sel:WORD_1
	s_waitcnt vmcnt(5)
	v_cndmask_b32_e64 v49, 0, v92, s[4:5]
	v_cvt_f32_f16_e32 v61, v49
	s_and_b64 s[2:3], s[2:3], s[0:1]
	v_add_f32_e32 v47, v98, v45
	v_add_f32_e32 v37, v37, v48
	v_cvt_f32_f16_sdwa v48, v49 dst_sel:DWORD dst_unused:UNUSED_PAD src0_sel:WORD_1
	v_max_f32_e32 v36, 0, v47
	v_add_f32_e32 v47, v42, v61
	v_cndmask_b32_e64 v45, 0, v93, s[4:5]
	v_add_f32_e32 v43, v43, v48
	v_max_f32_e32 v48, 0, v43
	s_waitcnt vmcnt(4)
	v_cndmask_b32_e64 v49, 0, v94, s[2:3]
	v_cvt_f32_f16_e32 v61, v49
	v_cndmask_b32_e64 v42, 0, v95, s[2:3]
	s_lshl_b32 s26, s10, 1
	s_mov_b32 s27, s31
	v_add_f32_e32 v43, v46, v61
	v_cvt_f32_f16_sdwa v61, v49 dst_sel:DWORD dst_unused:UNUSED_PAD src0_sel:WORD_1
	v_or_b32_e32 v46, 0x42, v31
	v_cmp_gt_i32_e64 s[2:3], s15, v46
	s_and_b64 s[4:5], s[2:3], vcc
	s_and_b64 s[2:3], s[2:3], s[0:1]
	v_add_f32_e32 v44, v44, v61
	v_max_f32_e32 v47, 0, v47
	v_max_f32_e32 v43, 0, v43
	;; [unrolled: 1-line block ×4, first 2 shown]
	s_waitcnt vmcnt(3)
	v_cndmask_b32_e64 v64, 0, v96, s[4:5]
	v_cvt_f32_f16_e32 v90, v64
	v_cvt_f32_f16_sdwa v64, v64 dst_sel:DWORD dst_unused:UNUSED_PAD src0_sel:WORD_1
	s_waitcnt vmcnt(2)
	v_cndmask_b32_e64 v83, 0, v83, s[2:3]
	v_cndmask_b32_e64 v61, 0, v84, s[2:3]
	v_cvt_f32_f16_e32 v84, v83
	v_add_f32_e32 v51, v51, v64
	v_cvt_f32_f16_sdwa v83, v83 dst_sel:DWORD dst_unused:UNUSED_PAD src0_sel:WORD_1
	v_cndmask_b32_e64 v49, 0, v97, s[4:5]
	v_add_f32_e32 v64, v58, v84
	v_or_b32_e32 v58, 0x43, v31
	v_cmp_gt_i32_e64 s[2:3], s15, v58
	s_and_b64 vcc, s[2:3], vcc
	s_waitcnt vmcnt(1)
	v_cndmask_b32_e32 v85, 0, v85, vcc
	v_cndmask_b32_e32 v84, 0, v86, vcc
	v_cvt_f32_f16_e32 v86, v85
	v_cvt_f32_f16_sdwa v85, v85 dst_sel:DWORD dst_unused:UNUSED_PAD src0_sel:WORD_1
	s_and_b64 vcc, s[2:3], s[0:1]
	v_add_f32_e32 v66, v66, v83
	v_add_f32_e32 v56, v56, v86
	;; [unrolled: 1-line block ×3, first 2 shown]
	s_waitcnt vmcnt(0)
	v_cndmask_b32_e32 v86, 0, v87, vcc
	v_cvt_f32_f16_e32 v87, v86
	v_cvt_f32_f16_sdwa v85, v86 dst_sel:DWORD dst_unused:UNUSED_PAD src0_sel:WORD_1
	v_max_f32_e32 v86, 0, v60
	v_max_f32_e32 v83, 0, v56
	v_add_f32_e32 v60, v69, v87
	v_max_f32_e32 v87, 0, v60
	v_add_f32_e32 v60, v68, v85
	v_cvt_f32_f16_sdwa v68, v73 dst_sel:DWORD dst_unused:UNUSED_PAD src0_sel:WORD_1
	v_cvt_f32_f16_e32 v69, v73
	v_max_f32_e32 v85, 0, v60
	v_mul_lo_u32 v60, v31, s6
	v_add_f32_e32 v41, v41, v68
	v_add_f32_e32 v40, v40, v69
	v_max_f32_e32 v40, 0, v40
	v_max_f32_e32 v41, 0, v41
	v_cvt_f16_f32_e32 v73, v75
	v_cvt_f16_f32_e32 v75, v80
	;; [unrolled: 1-line block ×4, first 2 shown]
	v_mad_u64_u32 v[40:41], s[0:1], v34, s7, v[60:61]
	v_cndmask_b32_e32 v56, 0, v88, vcc
	v_cmp_gt_i32_e32 vcc, s9, v34
	v_cmp_gt_i32_e64 s[2:3], s8, v31
	v_bfrev_b32_e32 v31, 1
	s_and_b64 s[0:1], s[2:3], vcc
	v_cndmask_b32_e64 v34, v31, 0, s[0:1]
	v_pack_b32_f16 v68, v73, v75
	v_pack_b32_f16 v69, v80, v69
	v_lshl_add_u32 v34, v40, 1, v34
	buffer_store_dwordx2 v[68:69], v34, s[24:27], 0 offen
	v_cvt_f32_f16_sdwa v34, v63 dst_sel:DWORD dst_unused:UNUSED_PAD src0_sel:WORD_1
	v_cvt_f32_f16_e32 v41, v63
	v_cvt_f16_f32_e32 v60, v74
	v_cvt_f16_f32_e32 v63, v81
	v_add_f32_e32 v34, v39, v34
	v_add_f32_e32 v38, v38, v41
	v_max_f32_e32 v38, 0, v38
	v_max_f32_e32 v34, 0, v34
	v_cvt_f16_f32_e32 v34, v34
	v_cvt_f16_f32_e32 v39, v38
	v_pack_b32_f16 v38, v60, v63
	v_cmp_gt_i32_e64 s[0:1], s9, v52
	v_cvt_f32_f16_sdwa v52, v76 dst_sel:DWORD dst_unused:UNUSED_PAD src0_sel:WORD_1
	v_cvt_f32_f16_e32 v60, v76
	s_lshl_b32 s4, s7, 6
	s_and_b64 s[2:3], s[2:3], s[0:1]
	v_add_u32_e32 v41, s4, v40
	v_pack_b32_f16 v39, v39, v34
	v_cndmask_b32_e64 v34, v31, 0, s[2:3]
	v_lshl_add_u32 v34, v41, 1, v34
	v_add_f32_e32 v33, v33, v52
	v_add_f32_e32 v32, v32, v60
	buffer_store_dwordx2 v[38:39], v34, s[24:27], 0 offen
	v_add_u32_e32 v34, s6, v41
	v_cvt_f32_f16_sdwa v39, v54 dst_sel:DWORD dst_unused:UNUSED_PAD src0_sel:WORD_1
	v_cvt_f32_f16_e32 v41, v54
	v_max_f32_e32 v32, 0, v32
	v_max_f32_e32 v33, 0, v33
	v_cvt_f16_f32_e32 v33, v33
	v_cvt_f16_f32_e32 v52, v32
	;; [unrolled: 1-line block ×4, first 2 shown]
	v_add_f32_e32 v25, v25, v39
	v_add_f32_e32 v24, v24, v41
	v_cmp_gt_i32_e64 s[2:3], s8, v59
	v_max_f32_e32 v24, 0, v24
	v_max_f32_e32 v25, 0, v25
	v_pack_b32_f16 v33, v52, v33
	s_and_b64 s[10:11], s[2:3], s[0:1]
	v_cvt_f16_f32_e32 v52, v62
	v_cvt_f16_f32_e32 v54, v72
	v_cvt_f16_f32_e32 v25, v25
	v_cvt_f16_f32_e32 v39, v24
	v_cndmask_b32_e64 v38, v31, 0, s[10:11]
	v_pack_b32_f16 v32, v63, v68
	v_lshl_add_u32 v38, v34, 1, v38
	s_and_b64 s[2:3], s[2:3], vcc
	buffer_store_dwordx2 v[32:33], v38, s[24:27], 0 offen
	v_add_u32_e32 v32, s6, v40
	v_cndmask_b32_e64 v33, v31, 0, s[2:3]
	v_cmp_gt_i32_e64 s[2:3], s8, v55
	v_pack_b32_f16 v24, v52, v54
	v_pack_b32_f16 v25, v39, v25
	v_lshl_add_u32 v33, v32, 1, v33
	s_and_b64 s[10:11], s[2:3], vcc
	v_cvt_f32_f16_sdwa v38, v67 dst_sel:DWORD dst_unused:UNUSED_PAD src0_sel:WORD_1
	v_cvt_f32_f16_e32 v39, v67
	buffer_store_dwordx2 v[24:25], v33, s[24:27], 0 offen
	v_add_u32_e32 v24, s6, v32
	v_cndmask_b32_e64 v25, v31, 0, s[10:11]
	v_lshl_add_u32 v24, v24, 1, v25
	v_cvt_f32_f16_sdwa v25, v65 dst_sel:DWORD dst_unused:UNUSED_PAD src0_sel:WORD_1
	v_cvt_f32_f16_e32 v32, v65
	v_add_f32_e32 v19, v19, v38
	v_add_f32_e32 v18, v18, v39
	v_max_f32_e32 v18, 0, v18
	v_max_f32_e32 v19, 0, v19
	v_add_f32_e32 v23, v23, v25
	v_add_f32_e32 v22, v22, v32
	v_cvt_f16_f32_e32 v40, v78
	v_cvt_f16_f32_e32 v41, v79
	;; [unrolled: 1-line block ×4, first 2 shown]
	v_max_f32_e32 v22, 0, v22
	v_max_f32_e32 v23, 0, v23
	v_cvt_f16_f32_e32 v23, v23
	v_cvt_f16_f32_e32 v22, v22
	v_pack_b32_f16 v18, v40, v41
	v_pack_b32_f16 v19, v38, v19
	buffer_store_dwordx2 v[18:19], v24, s[24:27], 0 offen
	v_pack_b32_f16 v19, v22, v23
	v_cvt_f32_f16_sdwa v23, v77 dst_sel:DWORD dst_unused:UNUSED_PAD src0_sel:WORD_1
	v_cvt_f32_f16_e32 v25, v77
	v_cvt_f16_f32_e32 v33, v82
	v_cvt_f16_f32_e32 v38, v101
	v_add_f32_e32 v17, v17, v23
	v_add_f32_e32 v16, v16, v25
	v_max_f32_e32 v16, 0, v16
	v_max_f32_e32 v17, 0, v17
	v_cvt_f16_f32_e32 v17, v17
	v_cvt_f16_f32_e32 v23, v16
	s_and_b64 s[2:3], s[2:3], s[0:1]
	v_add_u32_e32 v24, s6, v34
	v_cndmask_b32_e64 v22, v31, 0, s[2:3]
	v_pack_b32_f16 v18, v33, v38
	v_lshl_add_u32 v22, v24, 1, v22
	buffer_store_dwordx2 v[18:19], v22, s[24:27], 0 offen
	v_pack_b32_f16 v17, v23, v17
	v_cvt_f32_f16_sdwa v22, v53 dst_sel:DWORD dst_unused:UNUSED_PAD src0_sel:WORD_1
	v_cvt_f32_f16_e32 v23, v53
	v_cvt_f16_f32_e32 v32, v89
	v_cvt_f16_f32_e32 v33, v102
	v_add_f32_e32 v11, v11, v22
	v_add_f32_e32 v10, v10, v23
	v_cmp_gt_i32_e64 s[2:3], s8, v57
	v_max_f32_e32 v10, 0, v10
	v_max_f32_e32 v11, 0, v11
	v_pack_b32_f16 v16, v32, v33
	s_and_b64 s[10:11], s[2:3], s[0:1]
	v_cvt_f16_f32_e32 v25, v70
	v_cvt_f16_f32_e32 v32, v71
	;; [unrolled: 1-line block ×4, first 2 shown]
	v_add_u32_e32 v18, s6, v24
	v_cndmask_b32_e64 v19, v31, 0, s[10:11]
	v_lshl_add_u32 v19, v18, 1, v19
	s_and_b64 s[2:3], s[2:3], vcc
	buffer_store_dwordx2 v[16:17], v19, s[24:27], 0 offen
	v_subrev_u32_e32 v16, s4, v18
	v_cndmask_b32_e64 v17, v31, 0, s[2:3]
	v_pack_b32_f16 v10, v25, v32
	v_pack_b32_f16 v11, v22, v11
	v_lshl_add_u32 v17, v16, 1, v17
	buffer_store_dwordx2 v[10:11], v17, s[24:27], 0 offen
	v_cvt_f32_f16_sdwa v10, v84 dst_sel:DWORD dst_unused:UNUSED_PAD src0_sel:WORD_1
	v_cvt_f32_f16_e32 v11, v84
	v_cmp_gt_i32_e64 s[2:3], s8, v58
	s_lshl_b32 s5, s6, 6
	v_add_f32_e32 v10, v15, v10
	v_add_f32_e32 v11, v14, v11
	v_max_f32_e32 v11, 0, v11
	v_max_f32_e32 v10, 0, v10
	v_cvt_f16_f32_e32 v14, v10
	v_cvt_f16_f32_e32 v11, v11
	s_and_b64 s[10:11], s[2:3], vcc
	v_add_u32_e32 v15, s5, v16
	v_cvt_f32_f16_e32 v16, v56
	v_pack_b32_f16 v11, v11, v14
	v_cndmask_b32_e64 v14, v31, 0, s[10:11]
	v_lshl_add_u32 v14, v15, 1, v14
	v_cvt_f32_f16_sdwa v15, v56 dst_sel:DWORD dst_unused:UNUSED_PAD src0_sel:WORD_1
	v_add_f32_e32 v16, v20, v16
	v_cvt_f16_f32_e32 v17, v83
	v_cvt_f16_f32_e32 v19, v86
	v_add_f32_e32 v15, v21, v15
	v_max_f32_e32 v16, 0, v16
	v_max_f32_e32 v15, 0, v15
	v_cvt_f16_f32_e32 v15, v15
	v_cvt_f16_f32_e32 v16, v16
	v_pack_b32_f16 v10, v17, v19
	s_and_b64 s[2:3], s[2:3], s[0:1]
	buffer_store_dwordx2 v[10:11], v14, s[24:27], 0 offen
	v_add_u32_e32 v14, s5, v18
	v_pack_b32_f16 v11, v16, v15
	v_cndmask_b32_e64 v15, v31, 0, s[2:3]
	v_lshl_add_u32 v14, v14, 1, v15
	v_cvt_f32_f16_sdwa v15, v61 dst_sel:DWORD dst_unused:UNUSED_PAD src0_sel:WORD_1
	v_cvt_f32_f16_e32 v16, v61
	v_cvt_f16_f32_e32 v17, v87
	v_cvt_f16_f32_e32 v19, v85
	v_add_f32_e32 v13, v13, v15
	v_add_f32_e32 v12, v12, v16
	v_max_f32_e32 v12, 0, v12
	v_max_f32_e32 v13, 0, v13
	v_cvt_f16_f32_e32 v13, v13
	v_cvt_f16_f32_e32 v12, v12
	v_pack_b32_f16 v10, v17, v19
	buffer_store_dwordx2 v[10:11], v14, s[24:27], 0 offen
	v_cvt_f32_f16_e32 v15, v49
	v_pack_b32_f16 v11, v12, v13
	v_cvt_f32_f16_sdwa v13, v49 dst_sel:DWORD dst_unused:UNUSED_PAD src0_sel:WORD_1
	v_max_f32_e32 v64, 0, v64
	v_max_f32_e32 v66, 0, v66
	v_cvt_f16_f32_e32 v17, v64
	v_cvt_f16_f32_e32 v18, v66
	v_add_f32_e32 v50, v50, v90
	v_add_f32_e32 v9, v9, v13
	;; [unrolled: 1-line block ×3, first 2 shown]
	v_max_f32_e32 v50, 0, v50
	v_max_f32_e32 v51, 0, v51
	v_cmp_ge_i32_e64 s[2:3], s8, v58
	v_max_f32_e32 v8, 0, v8
	v_max_f32_e32 v9, 0, v9
	v_pack_b32_f16 v10, v17, v18
	s_and_b64 s[2:3], s[2:3], s[0:1]
	v_cvt_f16_f32_e32 v16, v50
	v_cvt_f16_f32_e32 v17, v51
	;; [unrolled: 1-line block ×4, first 2 shown]
	v_add_u32_e32 v14, s5, v24
	v_cndmask_b32_e64 v12, v31, 0, s[2:3]
	v_cmp_gt_i32_e64 s[2:3], s8, v46
	v_lshl_add_u32 v12, v14, 1, v12
	s_and_b64 s[2:3], s[2:3], vcc
	buffer_store_dwordx2 v[10:11], v12, s[24:27], 0 offen
	v_subrev_u32_e32 v10, s4, v14
	v_cndmask_b32_e64 v11, v31, 0, s[2:3]
	v_pack_b32_f16 v8, v16, v17
	v_pack_b32_f16 v9, v13, v9
	v_lshl_add_u32 v11, v10, 1, v11
	v_cvt_f32_f16_sdwa v12, v45 dst_sel:DWORD dst_unused:UNUSED_PAD src0_sel:WORD_1
	v_cvt_f32_f16_e32 v13, v45
	buffer_store_dwordx2 v[8:9], v11, s[24:27], 0 offen
	v_subrev_u32_e32 v8, s6, v10
	v_cvt_f32_f16_sdwa v10, v42 dst_sel:DWORD dst_unused:UNUSED_PAD src0_sel:WORD_1
	v_cvt_f32_f16_e32 v11, v42
	v_add_f32_e32 v5, v5, v12
	v_add_f32_e32 v4, v4, v13
	v_max_f32_e32 v4, 0, v4
	v_max_f32_e32 v5, 0, v5
	v_add_f32_e32 v7, v7, v10
	v_add_f32_e32 v6, v6, v11
	v_cvt_f16_f32_e32 v14, v47
	v_cvt_f16_f32_e32 v15, v48
	;; [unrolled: 1-line block ×4, first 2 shown]
	v_max_f32_e32 v6, 0, v6
	v_max_f32_e32 v7, 0, v7
	v_cmp_ge_i32_e64 s[2:3], s8, v46
	v_cvt_f16_f32_e32 v7, v7
	v_cvt_f16_f32_e32 v6, v6
	s_and_b64 s[2:3], s[2:3], vcc
	v_cndmask_b32_e64 v9, v31, 0, s[2:3]
	v_pack_b32_f16 v4, v14, v15
	v_pack_b32_f16 v5, v12, v5
	v_lshl_add_u32 v9, v8, 1, v9
	buffer_store_dwordx2 v[4:5], v9, s[24:27], 0 offen
	v_pack_b32_f16 v5, v6, v7
	v_cvt_f32_f16_sdwa v7, v35 dst_sel:DWORD dst_unused:UNUSED_PAD src0_sel:WORD_1
	v_cvt_f32_f16_e32 v9, v35
	v_cvt_f16_f32_e32 v12, v43
	v_cvt_f16_f32_e32 v13, v44
	v_add_f32_e32 v3, v3, v7
	v_add_f32_e32 v2, v2, v9
	v_max_f32_e32 v2, 0, v2
	v_max_f32_e32 v3, 0, v3
	v_cmp_gt_i32_e64 s[2:3], s8, v30
	v_cvt_f16_f32_e32 v3, v3
	v_cvt_f16_f32_e32 v7, v2
	s_and_b64 s[2:3], s[2:3], s[0:1]
	v_add_u32_e32 v8, s4, v8
	v_cndmask_b32_e64 v6, v31, 0, s[2:3]
	v_pack_b32_f16 v4, v12, v13
	v_lshl_add_u32 v6, v8, 1, v6
	buffer_store_dwordx2 v[4:5], v6, s[24:27], 0 offen
	v_pack_b32_f16 v3, v7, v3
	v_cvt_f32_f16_sdwa v6, v27 dst_sel:DWORD dst_unused:UNUSED_PAD src0_sel:WORD_1
	v_cvt_f32_f16_e32 v7, v27
	v_cvt_f16_f32_e32 v10, v36
	v_cvt_f16_f32_e32 v11, v37
	v_add_f32_e32 v1, v1, v6
	v_add_f32_e32 v0, v0, v7
	v_max_f32_e32 v28, 0, v28
	v_max_f32_e32 v29, 0, v29
	v_cmp_ge_i32_e64 s[2:3], s8, v30
	v_max_f32_e32 v0, 0, v0
	v_max_f32_e32 v1, 0, v1
	v_subrev_u32_e32 v4, s6, v8
	s_and_b64 s[0:1], s[2:3], s[0:1]
	v_cvt_f16_f32_e32 v8, v28
	v_cvt_f16_f32_e32 v9, v29
	;; [unrolled: 1-line block ×4, first 2 shown]
	v_cndmask_b32_e64 v5, v31, 0, s[0:1]
	v_cmp_gt_i32_e64 s[0:1], s8, v26
	v_pack_b32_f16 v2, v10, v11
	v_lshl_add_u32 v5, v4, 1, v5
	s_and_b64 s[0:1], s[0:1], vcc
	buffer_store_dwordx2 v[2:3], v5, s[24:27], 0 offen
	v_subrev_u32_e32 v2, s4, v4
	v_cndmask_b32_e64 v3, v31, 0, s[0:1]
	v_pack_b32_f16 v0, v8, v9
	v_pack_b32_f16 v1, v6, v1
	v_lshl_add_u32 v2, v2, 1, v3
	buffer_store_dwordx2 v[0:1], v2, s[24:27], 0 offen
	s_endpgm
	.section	.rodata,"a",@progbits
	.p2align	6, 0x0
	.amdhsa_kernel _ZN2ck16tensor_operation6device12_GLOBAL__N_137kernel_grouped_conv_fwd_dl_multiple_dINS_32GridwiseGemmDlMultipleD_km_kn_mnILi256EDF16_fNS_5TupleIJDF16_EEEDF16_NS0_12element_wise11PassThroughES8_NS7_7AddReluELNS_25InMemoryDataOperationEnumE0ENS_16TensorDescriptorINS5_IJNS_5EmbedINS5_IJiiiiiEEESD_Lb0EEENS_11PassThroughIiEENS_3PadIiiiLb0EEESI_SI_SG_SG_NSC_INS5_IJiiEEESJ_Lb0EEESK_SK_SG_NS_23Merge_v2_magic_divisionINS5_IJiiiiEEEEESN_NS_8RightPadIiiLb0EEESP_NS_7UnMergeISJ_Lb0EEESG_EEENS5_IJNS_8SequenceIJLi0EEEENST_IJLi1EEEENST_IJLi2EEEENST_IJLi3EEEENST_IJLi4EEEENST_IJLi5EEEENST_IJLi6EEEENST_IJLi7EEEENST_IJLi8EEEENST_IJLi9EEEENST_IJLi10EEEENST_IJLi11ELi13ELi15ELi17EEEENST_IJLi12ELi14ELi16ELi18EEEENST_IJLi19EEEENST_IJLi20EEEENST_IJLi22EEEENST_IJLi21EEEEEEENS5_IJNST_IJLi1ELi2ELi3ELi4ELi5EEEES10_S11_S12_S13_S14_NST_IJLi11EEEENST_IJLi12ELi13EEEENST_IJLi14ELi15EEEENST_IJLi16ELi17EEEENST_IJLi18EEEES17_S18_S1A_S19_NST_IJLi23ELi24EEEENST_IJLi25EEEEEEENST_IJLi23ELi25ELi24EEEElEENSB_INS5_IJSR_SP_SP_SR_SG_EEENS5_IJSU_SV_SW_SY_SX_EEENS5_IJNST_IJLi1ELi2EEEESX_SY_NST_IJLi5ELi6EEEES11_EEENST_IJLi5ELi7ELi6EEEElEENSB_INS5_IJSK_SP_SP_EEENS5_IJSU_SV_SW_EEENS5_IJS1P_SX_SY_EEENST_IJLi3ELi4EEEElEELi128ELi128ELi16ELi2ELi4ELi4ELi1ENST_IJLi8ELi2EEEES1Z_NST_IJLi8ELi1ELi1ELi2EEEENST_IJLi2ELi1ELi128ELi1EEEENST_IJLi1ELi2ELi0ELi3EEEES22_NST_IJLi4ELi1ELi1ELi2EEEES22_NST_IJLi1ELi1ELi1ELi2EEEES20_S21_S22_S22_S23_S22_S24_NST_IJLi0ELi1ELi2ELi3ELi4ELi5EEEELi5ELi4EEEDF16_NS5_IJPKDF16_EEEDF16_S8_S8_S9_NSB_INS5_IJSE_SG_SI_SI_SI_SG_SG_SK_SK_SK_SG_SN_SN_SP_SP_SR_SG_SG_NSQ_INS5_IJiNS_17integral_constantIiLi128EEEEEELb0EEENSF_INS2A_IiLi2EEEEEEEENS5_IJSU_SV_SW_SX_SY_SZ_S10_S11_S12_S13_S14_S15_S16_S17_S18_S19_S1A_NST_IJLi23EEEES1J_NST_IJLi24EEEEEEENS5_IJS1C_S10_S11_S12_S13_S14_S1D_S1E_S1F_S1G_S1H_S17_S18_S1A_S19_S1I_S1J_NST_IJLi26EEEENST_IJLi27ELi28EEEENST_IJLi29EEEEEEENST_IJLi26ELi27ELi28ELi29EEEElEENSB_INS5_IJSR_SP_SP_SR_SG_SG_S2D_S2F_EEENS5_IJSU_SV_SW_SY_SX_SZ_S11_S10_EEENS5_IJS1P_SX_SY_S1Q_S11_S12_NST_IJLi9ELi10EEEES1D_EEENST_IJLi8ELi9ELi10ELi11EEEElEENS5_IJNSB_INS5_IJSK_SP_SP_NSQ_INS5_IJiS2E_NS2A_IiLi64EEEEEELb0EEES2Y_EEENS5_IJSU_SV_SW_SX_SY_EEENS5_IJS1P_SX_SY_NST_IJLi5ELi6ELi7EEEENST_IJLi8ELi9ELi10EEEEEEENST_IJLi5ELi6ELi7ELi8ELi9ELi10EEEElEEEEES35_NS_31BlockToCTileMap_M00_N00_M01_N01ILi128ELi128ES1Y_Lb0EEENS1_30ComputePtrOffsetOfStridedBatchILi1ELi1ELi1EvEELb0ELb0EEEvPKT0_S3D_T1_PT2_T3_T4_T5_iT6_T7_T8_T9_T10_T11_
		.amdhsa_group_segment_fixed_size 32768
		.amdhsa_private_segment_fixed_size 0
		.amdhsa_kernarg_size 1024
		.amdhsa_user_sgpr_count 6
		.amdhsa_user_sgpr_private_segment_buffer 1
		.amdhsa_user_sgpr_dispatch_ptr 0
		.amdhsa_user_sgpr_queue_ptr 0
		.amdhsa_user_sgpr_kernarg_segment_ptr 1
		.amdhsa_user_sgpr_dispatch_id 0
		.amdhsa_user_sgpr_flat_scratch_init 0
		.amdhsa_user_sgpr_private_segment_size 0
		.amdhsa_uses_dynamic_stack 0
		.amdhsa_system_sgpr_private_segment_wavefront_offset 0
		.amdhsa_system_sgpr_workgroup_id_x 1
		.amdhsa_system_sgpr_workgroup_id_y 0
		.amdhsa_system_sgpr_workgroup_id_z 0
		.amdhsa_system_sgpr_workgroup_info 0
		.amdhsa_system_vgpr_workitem_id 0
		.amdhsa_next_free_vgpr 120
		.amdhsa_next_free_sgpr 98
		.amdhsa_reserve_vcc 1
		.amdhsa_reserve_flat_scratch 0
		.amdhsa_float_round_mode_32 0
		.amdhsa_float_round_mode_16_64 0
		.amdhsa_float_denorm_mode_32 3
		.amdhsa_float_denorm_mode_16_64 3
		.amdhsa_dx10_clamp 1
		.amdhsa_ieee_mode 1
		.amdhsa_fp16_overflow 0
		.amdhsa_exception_fp_ieee_invalid_op 0
		.amdhsa_exception_fp_denorm_src 0
		.amdhsa_exception_fp_ieee_div_zero 0
		.amdhsa_exception_fp_ieee_overflow 0
		.amdhsa_exception_fp_ieee_underflow 0
		.amdhsa_exception_fp_ieee_inexact 0
		.amdhsa_exception_int_div_zero 0
	.end_amdhsa_kernel
	.section	.text._ZN2ck16tensor_operation6device12_GLOBAL__N_137kernel_grouped_conv_fwd_dl_multiple_dINS_32GridwiseGemmDlMultipleD_km_kn_mnILi256EDF16_fNS_5TupleIJDF16_EEEDF16_NS0_12element_wise11PassThroughES8_NS7_7AddReluELNS_25InMemoryDataOperationEnumE0ENS_16TensorDescriptorINS5_IJNS_5EmbedINS5_IJiiiiiEEESD_Lb0EEENS_11PassThroughIiEENS_3PadIiiiLb0EEESI_SI_SG_SG_NSC_INS5_IJiiEEESJ_Lb0EEESK_SK_SG_NS_23Merge_v2_magic_divisionINS5_IJiiiiEEEEESN_NS_8RightPadIiiLb0EEESP_NS_7UnMergeISJ_Lb0EEESG_EEENS5_IJNS_8SequenceIJLi0EEEENST_IJLi1EEEENST_IJLi2EEEENST_IJLi3EEEENST_IJLi4EEEENST_IJLi5EEEENST_IJLi6EEEENST_IJLi7EEEENST_IJLi8EEEENST_IJLi9EEEENST_IJLi10EEEENST_IJLi11ELi13ELi15ELi17EEEENST_IJLi12ELi14ELi16ELi18EEEENST_IJLi19EEEENST_IJLi20EEEENST_IJLi22EEEENST_IJLi21EEEEEEENS5_IJNST_IJLi1ELi2ELi3ELi4ELi5EEEES10_S11_S12_S13_S14_NST_IJLi11EEEENST_IJLi12ELi13EEEENST_IJLi14ELi15EEEENST_IJLi16ELi17EEEENST_IJLi18EEEES17_S18_S1A_S19_NST_IJLi23ELi24EEEENST_IJLi25EEEEEEENST_IJLi23ELi25ELi24EEEElEENSB_INS5_IJSR_SP_SP_SR_SG_EEENS5_IJSU_SV_SW_SY_SX_EEENS5_IJNST_IJLi1ELi2EEEESX_SY_NST_IJLi5ELi6EEEES11_EEENST_IJLi5ELi7ELi6EEEElEENSB_INS5_IJSK_SP_SP_EEENS5_IJSU_SV_SW_EEENS5_IJS1P_SX_SY_EEENST_IJLi3ELi4EEEElEELi128ELi128ELi16ELi2ELi4ELi4ELi1ENST_IJLi8ELi2EEEES1Z_NST_IJLi8ELi1ELi1ELi2EEEENST_IJLi2ELi1ELi128ELi1EEEENST_IJLi1ELi2ELi0ELi3EEEES22_NST_IJLi4ELi1ELi1ELi2EEEES22_NST_IJLi1ELi1ELi1ELi2EEEES20_S21_S22_S22_S23_S22_S24_NST_IJLi0ELi1ELi2ELi3ELi4ELi5EEEELi5ELi4EEEDF16_NS5_IJPKDF16_EEEDF16_S8_S8_S9_NSB_INS5_IJSE_SG_SI_SI_SI_SG_SG_SK_SK_SK_SG_SN_SN_SP_SP_SR_SG_SG_NSQ_INS5_IJiNS_17integral_constantIiLi128EEEEEELb0EEENSF_INS2A_IiLi2EEEEEEEENS5_IJSU_SV_SW_SX_SY_SZ_S10_S11_S12_S13_S14_S15_S16_S17_S18_S19_S1A_NST_IJLi23EEEES1J_NST_IJLi24EEEEEEENS5_IJS1C_S10_S11_S12_S13_S14_S1D_S1E_S1F_S1G_S1H_S17_S18_S1A_S19_S1I_S1J_NST_IJLi26EEEENST_IJLi27ELi28EEEENST_IJLi29EEEEEEENST_IJLi26ELi27ELi28ELi29EEEElEENSB_INS5_IJSR_SP_SP_SR_SG_SG_S2D_S2F_EEENS5_IJSU_SV_SW_SY_SX_SZ_S11_S10_EEENS5_IJS1P_SX_SY_S1Q_S11_S12_NST_IJLi9ELi10EEEES1D_EEENST_IJLi8ELi9ELi10ELi11EEEElEENS5_IJNSB_INS5_IJSK_SP_SP_NSQ_INS5_IJiS2E_NS2A_IiLi64EEEEEELb0EEES2Y_EEENS5_IJSU_SV_SW_SX_SY_EEENS5_IJS1P_SX_SY_NST_IJLi5ELi6ELi7EEEENST_IJLi8ELi9ELi10EEEEEEENST_IJLi5ELi6ELi7ELi8ELi9ELi10EEEElEEEEES35_NS_31BlockToCTileMap_M00_N00_M01_N01ILi128ELi128ES1Y_Lb0EEENS1_30ComputePtrOffsetOfStridedBatchILi1ELi1ELi1EvEELb0ELb0EEEvPKT0_S3D_T1_PT2_T3_T4_T5_iT6_T7_T8_T9_T10_T11_,"axG",@progbits,_ZN2ck16tensor_operation6device12_GLOBAL__N_137kernel_grouped_conv_fwd_dl_multiple_dINS_32GridwiseGemmDlMultipleD_km_kn_mnILi256EDF16_fNS_5TupleIJDF16_EEEDF16_NS0_12element_wise11PassThroughES8_NS7_7AddReluELNS_25InMemoryDataOperationEnumE0ENS_16TensorDescriptorINS5_IJNS_5EmbedINS5_IJiiiiiEEESD_Lb0EEENS_11PassThroughIiEENS_3PadIiiiLb0EEESI_SI_SG_SG_NSC_INS5_IJiiEEESJ_Lb0EEESK_SK_SG_NS_23Merge_v2_magic_divisionINS5_IJiiiiEEEEESN_NS_8RightPadIiiLb0EEESP_NS_7UnMergeISJ_Lb0EEESG_EEENS5_IJNS_8SequenceIJLi0EEEENST_IJLi1EEEENST_IJLi2EEEENST_IJLi3EEEENST_IJLi4EEEENST_IJLi5EEEENST_IJLi6EEEENST_IJLi7EEEENST_IJLi8EEEENST_IJLi9EEEENST_IJLi10EEEENST_IJLi11ELi13ELi15ELi17EEEENST_IJLi12ELi14ELi16ELi18EEEENST_IJLi19EEEENST_IJLi20EEEENST_IJLi22EEEENST_IJLi21EEEEEEENS5_IJNST_IJLi1ELi2ELi3ELi4ELi5EEEES10_S11_S12_S13_S14_NST_IJLi11EEEENST_IJLi12ELi13EEEENST_IJLi14ELi15EEEENST_IJLi16ELi17EEEENST_IJLi18EEEES17_S18_S1A_S19_NST_IJLi23ELi24EEEENST_IJLi25EEEEEEENST_IJLi23ELi25ELi24EEEElEENSB_INS5_IJSR_SP_SP_SR_SG_EEENS5_IJSU_SV_SW_SY_SX_EEENS5_IJNST_IJLi1ELi2EEEESX_SY_NST_IJLi5ELi6EEEES11_EEENST_IJLi5ELi7ELi6EEEElEENSB_INS5_IJSK_SP_SP_EEENS5_IJSU_SV_SW_EEENS5_IJS1P_SX_SY_EEENST_IJLi3ELi4EEEElEELi128ELi128ELi16ELi2ELi4ELi4ELi1ENST_IJLi8ELi2EEEES1Z_NST_IJLi8ELi1ELi1ELi2EEEENST_IJLi2ELi1ELi128ELi1EEEENST_IJLi1ELi2ELi0ELi3EEEES22_NST_IJLi4ELi1ELi1ELi2EEEES22_NST_IJLi1ELi1ELi1ELi2EEEES20_S21_S22_S22_S23_S22_S24_NST_IJLi0ELi1ELi2ELi3ELi4ELi5EEEELi5ELi4EEEDF16_NS5_IJPKDF16_EEEDF16_S8_S8_S9_NSB_INS5_IJSE_SG_SI_SI_SI_SG_SG_SK_SK_SK_SG_SN_SN_SP_SP_SR_SG_SG_NSQ_INS5_IJiNS_17integral_constantIiLi128EEEEEELb0EEENSF_INS2A_IiLi2EEEEEEEENS5_IJSU_SV_SW_SX_SY_SZ_S10_S11_S12_S13_S14_S15_S16_S17_S18_S19_S1A_NST_IJLi23EEEES1J_NST_IJLi24EEEEEEENS5_IJS1C_S10_S11_S12_S13_S14_S1D_S1E_S1F_S1G_S1H_S17_S18_S1A_S19_S1I_S1J_NST_IJLi26EEEENST_IJLi27ELi28EEEENST_IJLi29EEEEEEENST_IJLi26ELi27ELi28ELi29EEEElEENSB_INS5_IJSR_SP_SP_SR_SG_SG_S2D_S2F_EEENS5_IJSU_SV_SW_SY_SX_SZ_S11_S10_EEENS5_IJS1P_SX_SY_S1Q_S11_S12_NST_IJLi9ELi10EEEES1D_EEENST_IJLi8ELi9ELi10ELi11EEEElEENS5_IJNSB_INS5_IJSK_SP_SP_NSQ_INS5_IJiS2E_NS2A_IiLi64EEEEEELb0EEES2Y_EEENS5_IJSU_SV_SW_SX_SY_EEENS5_IJS1P_SX_SY_NST_IJLi5ELi6ELi7EEEENST_IJLi8ELi9ELi10EEEEEEENST_IJLi5ELi6ELi7ELi8ELi9ELi10EEEElEEEEES35_NS_31BlockToCTileMap_M00_N00_M01_N01ILi128ELi128ES1Y_Lb0EEENS1_30ComputePtrOffsetOfStridedBatchILi1ELi1ELi1EvEELb0ELb0EEEvPKT0_S3D_T1_PT2_T3_T4_T5_iT6_T7_T8_T9_T10_T11_,comdat
.Lfunc_end12:
	.size	_ZN2ck16tensor_operation6device12_GLOBAL__N_137kernel_grouped_conv_fwd_dl_multiple_dINS_32GridwiseGemmDlMultipleD_km_kn_mnILi256EDF16_fNS_5TupleIJDF16_EEEDF16_NS0_12element_wise11PassThroughES8_NS7_7AddReluELNS_25InMemoryDataOperationEnumE0ENS_16TensorDescriptorINS5_IJNS_5EmbedINS5_IJiiiiiEEESD_Lb0EEENS_11PassThroughIiEENS_3PadIiiiLb0EEESI_SI_SG_SG_NSC_INS5_IJiiEEESJ_Lb0EEESK_SK_SG_NS_23Merge_v2_magic_divisionINS5_IJiiiiEEEEESN_NS_8RightPadIiiLb0EEESP_NS_7UnMergeISJ_Lb0EEESG_EEENS5_IJNS_8SequenceIJLi0EEEENST_IJLi1EEEENST_IJLi2EEEENST_IJLi3EEEENST_IJLi4EEEENST_IJLi5EEEENST_IJLi6EEEENST_IJLi7EEEENST_IJLi8EEEENST_IJLi9EEEENST_IJLi10EEEENST_IJLi11ELi13ELi15ELi17EEEENST_IJLi12ELi14ELi16ELi18EEEENST_IJLi19EEEENST_IJLi20EEEENST_IJLi22EEEENST_IJLi21EEEEEEENS5_IJNST_IJLi1ELi2ELi3ELi4ELi5EEEES10_S11_S12_S13_S14_NST_IJLi11EEEENST_IJLi12ELi13EEEENST_IJLi14ELi15EEEENST_IJLi16ELi17EEEENST_IJLi18EEEES17_S18_S1A_S19_NST_IJLi23ELi24EEEENST_IJLi25EEEEEEENST_IJLi23ELi25ELi24EEEElEENSB_INS5_IJSR_SP_SP_SR_SG_EEENS5_IJSU_SV_SW_SY_SX_EEENS5_IJNST_IJLi1ELi2EEEESX_SY_NST_IJLi5ELi6EEEES11_EEENST_IJLi5ELi7ELi6EEEElEENSB_INS5_IJSK_SP_SP_EEENS5_IJSU_SV_SW_EEENS5_IJS1P_SX_SY_EEENST_IJLi3ELi4EEEElEELi128ELi128ELi16ELi2ELi4ELi4ELi1ENST_IJLi8ELi2EEEES1Z_NST_IJLi8ELi1ELi1ELi2EEEENST_IJLi2ELi1ELi128ELi1EEEENST_IJLi1ELi2ELi0ELi3EEEES22_NST_IJLi4ELi1ELi1ELi2EEEES22_NST_IJLi1ELi1ELi1ELi2EEEES20_S21_S22_S22_S23_S22_S24_NST_IJLi0ELi1ELi2ELi3ELi4ELi5EEEELi5ELi4EEEDF16_NS5_IJPKDF16_EEEDF16_S8_S8_S9_NSB_INS5_IJSE_SG_SI_SI_SI_SG_SG_SK_SK_SK_SG_SN_SN_SP_SP_SR_SG_SG_NSQ_INS5_IJiNS_17integral_constantIiLi128EEEEEELb0EEENSF_INS2A_IiLi2EEEEEEEENS5_IJSU_SV_SW_SX_SY_SZ_S10_S11_S12_S13_S14_S15_S16_S17_S18_S19_S1A_NST_IJLi23EEEES1J_NST_IJLi24EEEEEEENS5_IJS1C_S10_S11_S12_S13_S14_S1D_S1E_S1F_S1G_S1H_S17_S18_S1A_S19_S1I_S1J_NST_IJLi26EEEENST_IJLi27ELi28EEEENST_IJLi29EEEEEEENST_IJLi26ELi27ELi28ELi29EEEElEENSB_INS5_IJSR_SP_SP_SR_SG_SG_S2D_S2F_EEENS5_IJSU_SV_SW_SY_SX_SZ_S11_S10_EEENS5_IJS1P_SX_SY_S1Q_S11_S12_NST_IJLi9ELi10EEEES1D_EEENST_IJLi8ELi9ELi10ELi11EEEElEENS5_IJNSB_INS5_IJSK_SP_SP_NSQ_INS5_IJiS2E_NS2A_IiLi64EEEEEELb0EEES2Y_EEENS5_IJSU_SV_SW_SX_SY_EEENS5_IJS1P_SX_SY_NST_IJLi5ELi6ELi7EEEENST_IJLi8ELi9ELi10EEEEEEENST_IJLi5ELi6ELi7ELi8ELi9ELi10EEEElEEEEES35_NS_31BlockToCTileMap_M00_N00_M01_N01ILi128ELi128ES1Y_Lb0EEENS1_30ComputePtrOffsetOfStridedBatchILi1ELi1ELi1EvEELb0ELb0EEEvPKT0_S3D_T1_PT2_T3_T4_T5_iT6_T7_T8_T9_T10_T11_, .Lfunc_end12-_ZN2ck16tensor_operation6device12_GLOBAL__N_137kernel_grouped_conv_fwd_dl_multiple_dINS_32GridwiseGemmDlMultipleD_km_kn_mnILi256EDF16_fNS_5TupleIJDF16_EEEDF16_NS0_12element_wise11PassThroughES8_NS7_7AddReluELNS_25InMemoryDataOperationEnumE0ENS_16TensorDescriptorINS5_IJNS_5EmbedINS5_IJiiiiiEEESD_Lb0EEENS_11PassThroughIiEENS_3PadIiiiLb0EEESI_SI_SG_SG_NSC_INS5_IJiiEEESJ_Lb0EEESK_SK_SG_NS_23Merge_v2_magic_divisionINS5_IJiiiiEEEEESN_NS_8RightPadIiiLb0EEESP_NS_7UnMergeISJ_Lb0EEESG_EEENS5_IJNS_8SequenceIJLi0EEEENST_IJLi1EEEENST_IJLi2EEEENST_IJLi3EEEENST_IJLi4EEEENST_IJLi5EEEENST_IJLi6EEEENST_IJLi7EEEENST_IJLi8EEEENST_IJLi9EEEENST_IJLi10EEEENST_IJLi11ELi13ELi15ELi17EEEENST_IJLi12ELi14ELi16ELi18EEEENST_IJLi19EEEENST_IJLi20EEEENST_IJLi22EEEENST_IJLi21EEEEEEENS5_IJNST_IJLi1ELi2ELi3ELi4ELi5EEEES10_S11_S12_S13_S14_NST_IJLi11EEEENST_IJLi12ELi13EEEENST_IJLi14ELi15EEEENST_IJLi16ELi17EEEENST_IJLi18EEEES17_S18_S1A_S19_NST_IJLi23ELi24EEEENST_IJLi25EEEEEEENST_IJLi23ELi25ELi24EEEElEENSB_INS5_IJSR_SP_SP_SR_SG_EEENS5_IJSU_SV_SW_SY_SX_EEENS5_IJNST_IJLi1ELi2EEEESX_SY_NST_IJLi5ELi6EEEES11_EEENST_IJLi5ELi7ELi6EEEElEENSB_INS5_IJSK_SP_SP_EEENS5_IJSU_SV_SW_EEENS5_IJS1P_SX_SY_EEENST_IJLi3ELi4EEEElEELi128ELi128ELi16ELi2ELi4ELi4ELi1ENST_IJLi8ELi2EEEES1Z_NST_IJLi8ELi1ELi1ELi2EEEENST_IJLi2ELi1ELi128ELi1EEEENST_IJLi1ELi2ELi0ELi3EEEES22_NST_IJLi4ELi1ELi1ELi2EEEES22_NST_IJLi1ELi1ELi1ELi2EEEES20_S21_S22_S22_S23_S22_S24_NST_IJLi0ELi1ELi2ELi3ELi4ELi5EEEELi5ELi4EEEDF16_NS5_IJPKDF16_EEEDF16_S8_S8_S9_NSB_INS5_IJSE_SG_SI_SI_SI_SG_SG_SK_SK_SK_SG_SN_SN_SP_SP_SR_SG_SG_NSQ_INS5_IJiNS_17integral_constantIiLi128EEEEEELb0EEENSF_INS2A_IiLi2EEEEEEEENS5_IJSU_SV_SW_SX_SY_SZ_S10_S11_S12_S13_S14_S15_S16_S17_S18_S19_S1A_NST_IJLi23EEEES1J_NST_IJLi24EEEEEEENS5_IJS1C_S10_S11_S12_S13_S14_S1D_S1E_S1F_S1G_S1H_S17_S18_S1A_S19_S1I_S1J_NST_IJLi26EEEENST_IJLi27ELi28EEEENST_IJLi29EEEEEEENST_IJLi26ELi27ELi28ELi29EEEElEENSB_INS5_IJSR_SP_SP_SR_SG_SG_S2D_S2F_EEENS5_IJSU_SV_SW_SY_SX_SZ_S11_S10_EEENS5_IJS1P_SX_SY_S1Q_S11_S12_NST_IJLi9ELi10EEEES1D_EEENST_IJLi8ELi9ELi10ELi11EEEElEENS5_IJNSB_INS5_IJSK_SP_SP_NSQ_INS5_IJiS2E_NS2A_IiLi64EEEEEELb0EEES2Y_EEENS5_IJSU_SV_SW_SX_SY_EEENS5_IJS1P_SX_SY_NST_IJLi5ELi6ELi7EEEENST_IJLi8ELi9ELi10EEEEEEENST_IJLi5ELi6ELi7ELi8ELi9ELi10EEEElEEEEES35_NS_31BlockToCTileMap_M00_N00_M01_N01ILi128ELi128ES1Y_Lb0EEENS1_30ComputePtrOffsetOfStridedBatchILi1ELi1ELi1EvEELb0ELb0EEEvPKT0_S3D_T1_PT2_T3_T4_T5_iT6_T7_T8_T9_T10_T11_
                                        ; -- End function
	.set _ZN2ck16tensor_operation6device12_GLOBAL__N_137kernel_grouped_conv_fwd_dl_multiple_dINS_32GridwiseGemmDlMultipleD_km_kn_mnILi256EDF16_fNS_5TupleIJDF16_EEEDF16_NS0_12element_wise11PassThroughES8_NS7_7AddReluELNS_25InMemoryDataOperationEnumE0ENS_16TensorDescriptorINS5_IJNS_5EmbedINS5_IJiiiiiEEESD_Lb0EEENS_11PassThroughIiEENS_3PadIiiiLb0EEESI_SI_SG_SG_NSC_INS5_IJiiEEESJ_Lb0EEESK_SK_SG_NS_23Merge_v2_magic_divisionINS5_IJiiiiEEEEESN_NS_8RightPadIiiLb0EEESP_NS_7UnMergeISJ_Lb0EEESG_EEENS5_IJNS_8SequenceIJLi0EEEENST_IJLi1EEEENST_IJLi2EEEENST_IJLi3EEEENST_IJLi4EEEENST_IJLi5EEEENST_IJLi6EEEENST_IJLi7EEEENST_IJLi8EEEENST_IJLi9EEEENST_IJLi10EEEENST_IJLi11ELi13ELi15ELi17EEEENST_IJLi12ELi14ELi16ELi18EEEENST_IJLi19EEEENST_IJLi20EEEENST_IJLi22EEEENST_IJLi21EEEEEEENS5_IJNST_IJLi1ELi2ELi3ELi4ELi5EEEES10_S11_S12_S13_S14_NST_IJLi11EEEENST_IJLi12ELi13EEEENST_IJLi14ELi15EEEENST_IJLi16ELi17EEEENST_IJLi18EEEES17_S18_S1A_S19_NST_IJLi23ELi24EEEENST_IJLi25EEEEEEENST_IJLi23ELi25ELi24EEEElEENSB_INS5_IJSR_SP_SP_SR_SG_EEENS5_IJSU_SV_SW_SY_SX_EEENS5_IJNST_IJLi1ELi2EEEESX_SY_NST_IJLi5ELi6EEEES11_EEENST_IJLi5ELi7ELi6EEEElEENSB_INS5_IJSK_SP_SP_EEENS5_IJSU_SV_SW_EEENS5_IJS1P_SX_SY_EEENST_IJLi3ELi4EEEElEELi128ELi128ELi16ELi2ELi4ELi4ELi1ENST_IJLi8ELi2EEEES1Z_NST_IJLi8ELi1ELi1ELi2EEEENST_IJLi2ELi1ELi128ELi1EEEENST_IJLi1ELi2ELi0ELi3EEEES22_NST_IJLi4ELi1ELi1ELi2EEEES22_NST_IJLi1ELi1ELi1ELi2EEEES20_S21_S22_S22_S23_S22_S24_NST_IJLi0ELi1ELi2ELi3ELi4ELi5EEEELi5ELi4EEEDF16_NS5_IJPKDF16_EEEDF16_S8_S8_S9_NSB_INS5_IJSE_SG_SI_SI_SI_SG_SG_SK_SK_SK_SG_SN_SN_SP_SP_SR_SG_SG_NSQ_INS5_IJiNS_17integral_constantIiLi128EEEEEELb0EEENSF_INS2A_IiLi2EEEEEEEENS5_IJSU_SV_SW_SX_SY_SZ_S10_S11_S12_S13_S14_S15_S16_S17_S18_S19_S1A_NST_IJLi23EEEES1J_NST_IJLi24EEEEEEENS5_IJS1C_S10_S11_S12_S13_S14_S1D_S1E_S1F_S1G_S1H_S17_S18_S1A_S19_S1I_S1J_NST_IJLi26EEEENST_IJLi27ELi28EEEENST_IJLi29EEEEEEENST_IJLi26ELi27ELi28ELi29EEEElEENSB_INS5_IJSR_SP_SP_SR_SG_SG_S2D_S2F_EEENS5_IJSU_SV_SW_SY_SX_SZ_S11_S10_EEENS5_IJS1P_SX_SY_S1Q_S11_S12_NST_IJLi9ELi10EEEES1D_EEENST_IJLi8ELi9ELi10ELi11EEEElEENS5_IJNSB_INS5_IJSK_SP_SP_NSQ_INS5_IJiS2E_NS2A_IiLi64EEEEEELb0EEES2Y_EEENS5_IJSU_SV_SW_SX_SY_EEENS5_IJS1P_SX_SY_NST_IJLi5ELi6ELi7EEEENST_IJLi8ELi9ELi10EEEEEEENST_IJLi5ELi6ELi7ELi8ELi9ELi10EEEElEEEEES35_NS_31BlockToCTileMap_M00_N00_M01_N01ILi128ELi128ES1Y_Lb0EEENS1_30ComputePtrOffsetOfStridedBatchILi1ELi1ELi1EvEELb0ELb0EEEvPKT0_S3D_T1_PT2_T3_T4_T5_iT6_T7_T8_T9_T10_T11_.num_vgpr, 120
	.set _ZN2ck16tensor_operation6device12_GLOBAL__N_137kernel_grouped_conv_fwd_dl_multiple_dINS_32GridwiseGemmDlMultipleD_km_kn_mnILi256EDF16_fNS_5TupleIJDF16_EEEDF16_NS0_12element_wise11PassThroughES8_NS7_7AddReluELNS_25InMemoryDataOperationEnumE0ENS_16TensorDescriptorINS5_IJNS_5EmbedINS5_IJiiiiiEEESD_Lb0EEENS_11PassThroughIiEENS_3PadIiiiLb0EEESI_SI_SG_SG_NSC_INS5_IJiiEEESJ_Lb0EEESK_SK_SG_NS_23Merge_v2_magic_divisionINS5_IJiiiiEEEEESN_NS_8RightPadIiiLb0EEESP_NS_7UnMergeISJ_Lb0EEESG_EEENS5_IJNS_8SequenceIJLi0EEEENST_IJLi1EEEENST_IJLi2EEEENST_IJLi3EEEENST_IJLi4EEEENST_IJLi5EEEENST_IJLi6EEEENST_IJLi7EEEENST_IJLi8EEEENST_IJLi9EEEENST_IJLi10EEEENST_IJLi11ELi13ELi15ELi17EEEENST_IJLi12ELi14ELi16ELi18EEEENST_IJLi19EEEENST_IJLi20EEEENST_IJLi22EEEENST_IJLi21EEEEEEENS5_IJNST_IJLi1ELi2ELi3ELi4ELi5EEEES10_S11_S12_S13_S14_NST_IJLi11EEEENST_IJLi12ELi13EEEENST_IJLi14ELi15EEEENST_IJLi16ELi17EEEENST_IJLi18EEEES17_S18_S1A_S19_NST_IJLi23ELi24EEEENST_IJLi25EEEEEEENST_IJLi23ELi25ELi24EEEElEENSB_INS5_IJSR_SP_SP_SR_SG_EEENS5_IJSU_SV_SW_SY_SX_EEENS5_IJNST_IJLi1ELi2EEEESX_SY_NST_IJLi5ELi6EEEES11_EEENST_IJLi5ELi7ELi6EEEElEENSB_INS5_IJSK_SP_SP_EEENS5_IJSU_SV_SW_EEENS5_IJS1P_SX_SY_EEENST_IJLi3ELi4EEEElEELi128ELi128ELi16ELi2ELi4ELi4ELi1ENST_IJLi8ELi2EEEES1Z_NST_IJLi8ELi1ELi1ELi2EEEENST_IJLi2ELi1ELi128ELi1EEEENST_IJLi1ELi2ELi0ELi3EEEES22_NST_IJLi4ELi1ELi1ELi2EEEES22_NST_IJLi1ELi1ELi1ELi2EEEES20_S21_S22_S22_S23_S22_S24_NST_IJLi0ELi1ELi2ELi3ELi4ELi5EEEELi5ELi4EEEDF16_NS5_IJPKDF16_EEEDF16_S8_S8_S9_NSB_INS5_IJSE_SG_SI_SI_SI_SG_SG_SK_SK_SK_SG_SN_SN_SP_SP_SR_SG_SG_NSQ_INS5_IJiNS_17integral_constantIiLi128EEEEEELb0EEENSF_INS2A_IiLi2EEEEEEEENS5_IJSU_SV_SW_SX_SY_SZ_S10_S11_S12_S13_S14_S15_S16_S17_S18_S19_S1A_NST_IJLi23EEEES1J_NST_IJLi24EEEEEEENS5_IJS1C_S10_S11_S12_S13_S14_S1D_S1E_S1F_S1G_S1H_S17_S18_S1A_S19_S1I_S1J_NST_IJLi26EEEENST_IJLi27ELi28EEEENST_IJLi29EEEEEEENST_IJLi26ELi27ELi28ELi29EEEElEENSB_INS5_IJSR_SP_SP_SR_SG_SG_S2D_S2F_EEENS5_IJSU_SV_SW_SY_SX_SZ_S11_S10_EEENS5_IJS1P_SX_SY_S1Q_S11_S12_NST_IJLi9ELi10EEEES1D_EEENST_IJLi8ELi9ELi10ELi11EEEElEENS5_IJNSB_INS5_IJSK_SP_SP_NSQ_INS5_IJiS2E_NS2A_IiLi64EEEEEELb0EEES2Y_EEENS5_IJSU_SV_SW_SX_SY_EEENS5_IJS1P_SX_SY_NST_IJLi5ELi6ELi7EEEENST_IJLi8ELi9ELi10EEEEEEENST_IJLi5ELi6ELi7ELi8ELi9ELi10EEEElEEEEES35_NS_31BlockToCTileMap_M00_N00_M01_N01ILi128ELi128ES1Y_Lb0EEENS1_30ComputePtrOffsetOfStridedBatchILi1ELi1ELi1EvEELb0ELb0EEEvPKT0_S3D_T1_PT2_T3_T4_T5_iT6_T7_T8_T9_T10_T11_.num_agpr, 0
	.set _ZN2ck16tensor_operation6device12_GLOBAL__N_137kernel_grouped_conv_fwd_dl_multiple_dINS_32GridwiseGemmDlMultipleD_km_kn_mnILi256EDF16_fNS_5TupleIJDF16_EEEDF16_NS0_12element_wise11PassThroughES8_NS7_7AddReluELNS_25InMemoryDataOperationEnumE0ENS_16TensorDescriptorINS5_IJNS_5EmbedINS5_IJiiiiiEEESD_Lb0EEENS_11PassThroughIiEENS_3PadIiiiLb0EEESI_SI_SG_SG_NSC_INS5_IJiiEEESJ_Lb0EEESK_SK_SG_NS_23Merge_v2_magic_divisionINS5_IJiiiiEEEEESN_NS_8RightPadIiiLb0EEESP_NS_7UnMergeISJ_Lb0EEESG_EEENS5_IJNS_8SequenceIJLi0EEEENST_IJLi1EEEENST_IJLi2EEEENST_IJLi3EEEENST_IJLi4EEEENST_IJLi5EEEENST_IJLi6EEEENST_IJLi7EEEENST_IJLi8EEEENST_IJLi9EEEENST_IJLi10EEEENST_IJLi11ELi13ELi15ELi17EEEENST_IJLi12ELi14ELi16ELi18EEEENST_IJLi19EEEENST_IJLi20EEEENST_IJLi22EEEENST_IJLi21EEEEEEENS5_IJNST_IJLi1ELi2ELi3ELi4ELi5EEEES10_S11_S12_S13_S14_NST_IJLi11EEEENST_IJLi12ELi13EEEENST_IJLi14ELi15EEEENST_IJLi16ELi17EEEENST_IJLi18EEEES17_S18_S1A_S19_NST_IJLi23ELi24EEEENST_IJLi25EEEEEEENST_IJLi23ELi25ELi24EEEElEENSB_INS5_IJSR_SP_SP_SR_SG_EEENS5_IJSU_SV_SW_SY_SX_EEENS5_IJNST_IJLi1ELi2EEEESX_SY_NST_IJLi5ELi6EEEES11_EEENST_IJLi5ELi7ELi6EEEElEENSB_INS5_IJSK_SP_SP_EEENS5_IJSU_SV_SW_EEENS5_IJS1P_SX_SY_EEENST_IJLi3ELi4EEEElEELi128ELi128ELi16ELi2ELi4ELi4ELi1ENST_IJLi8ELi2EEEES1Z_NST_IJLi8ELi1ELi1ELi2EEEENST_IJLi2ELi1ELi128ELi1EEEENST_IJLi1ELi2ELi0ELi3EEEES22_NST_IJLi4ELi1ELi1ELi2EEEES22_NST_IJLi1ELi1ELi1ELi2EEEES20_S21_S22_S22_S23_S22_S24_NST_IJLi0ELi1ELi2ELi3ELi4ELi5EEEELi5ELi4EEEDF16_NS5_IJPKDF16_EEEDF16_S8_S8_S9_NSB_INS5_IJSE_SG_SI_SI_SI_SG_SG_SK_SK_SK_SG_SN_SN_SP_SP_SR_SG_SG_NSQ_INS5_IJiNS_17integral_constantIiLi128EEEEEELb0EEENSF_INS2A_IiLi2EEEEEEEENS5_IJSU_SV_SW_SX_SY_SZ_S10_S11_S12_S13_S14_S15_S16_S17_S18_S19_S1A_NST_IJLi23EEEES1J_NST_IJLi24EEEEEEENS5_IJS1C_S10_S11_S12_S13_S14_S1D_S1E_S1F_S1G_S1H_S17_S18_S1A_S19_S1I_S1J_NST_IJLi26EEEENST_IJLi27ELi28EEEENST_IJLi29EEEEEEENST_IJLi26ELi27ELi28ELi29EEEElEENSB_INS5_IJSR_SP_SP_SR_SG_SG_S2D_S2F_EEENS5_IJSU_SV_SW_SY_SX_SZ_S11_S10_EEENS5_IJS1P_SX_SY_S1Q_S11_S12_NST_IJLi9ELi10EEEES1D_EEENST_IJLi8ELi9ELi10ELi11EEEElEENS5_IJNSB_INS5_IJSK_SP_SP_NSQ_INS5_IJiS2E_NS2A_IiLi64EEEEEELb0EEES2Y_EEENS5_IJSU_SV_SW_SX_SY_EEENS5_IJS1P_SX_SY_NST_IJLi5ELi6ELi7EEEENST_IJLi8ELi9ELi10EEEEEEENST_IJLi5ELi6ELi7ELi8ELi9ELi10EEEElEEEEES35_NS_31BlockToCTileMap_M00_N00_M01_N01ILi128ELi128ES1Y_Lb0EEENS1_30ComputePtrOffsetOfStridedBatchILi1ELi1ELi1EvEELb0ELb0EEEvPKT0_S3D_T1_PT2_T3_T4_T5_iT6_T7_T8_T9_T10_T11_.numbered_sgpr, 80
	.set _ZN2ck16tensor_operation6device12_GLOBAL__N_137kernel_grouped_conv_fwd_dl_multiple_dINS_32GridwiseGemmDlMultipleD_km_kn_mnILi256EDF16_fNS_5TupleIJDF16_EEEDF16_NS0_12element_wise11PassThroughES8_NS7_7AddReluELNS_25InMemoryDataOperationEnumE0ENS_16TensorDescriptorINS5_IJNS_5EmbedINS5_IJiiiiiEEESD_Lb0EEENS_11PassThroughIiEENS_3PadIiiiLb0EEESI_SI_SG_SG_NSC_INS5_IJiiEEESJ_Lb0EEESK_SK_SG_NS_23Merge_v2_magic_divisionINS5_IJiiiiEEEEESN_NS_8RightPadIiiLb0EEESP_NS_7UnMergeISJ_Lb0EEESG_EEENS5_IJNS_8SequenceIJLi0EEEENST_IJLi1EEEENST_IJLi2EEEENST_IJLi3EEEENST_IJLi4EEEENST_IJLi5EEEENST_IJLi6EEEENST_IJLi7EEEENST_IJLi8EEEENST_IJLi9EEEENST_IJLi10EEEENST_IJLi11ELi13ELi15ELi17EEEENST_IJLi12ELi14ELi16ELi18EEEENST_IJLi19EEEENST_IJLi20EEEENST_IJLi22EEEENST_IJLi21EEEEEEENS5_IJNST_IJLi1ELi2ELi3ELi4ELi5EEEES10_S11_S12_S13_S14_NST_IJLi11EEEENST_IJLi12ELi13EEEENST_IJLi14ELi15EEEENST_IJLi16ELi17EEEENST_IJLi18EEEES17_S18_S1A_S19_NST_IJLi23ELi24EEEENST_IJLi25EEEEEEENST_IJLi23ELi25ELi24EEEElEENSB_INS5_IJSR_SP_SP_SR_SG_EEENS5_IJSU_SV_SW_SY_SX_EEENS5_IJNST_IJLi1ELi2EEEESX_SY_NST_IJLi5ELi6EEEES11_EEENST_IJLi5ELi7ELi6EEEElEENSB_INS5_IJSK_SP_SP_EEENS5_IJSU_SV_SW_EEENS5_IJS1P_SX_SY_EEENST_IJLi3ELi4EEEElEELi128ELi128ELi16ELi2ELi4ELi4ELi1ENST_IJLi8ELi2EEEES1Z_NST_IJLi8ELi1ELi1ELi2EEEENST_IJLi2ELi1ELi128ELi1EEEENST_IJLi1ELi2ELi0ELi3EEEES22_NST_IJLi4ELi1ELi1ELi2EEEES22_NST_IJLi1ELi1ELi1ELi2EEEES20_S21_S22_S22_S23_S22_S24_NST_IJLi0ELi1ELi2ELi3ELi4ELi5EEEELi5ELi4EEEDF16_NS5_IJPKDF16_EEEDF16_S8_S8_S9_NSB_INS5_IJSE_SG_SI_SI_SI_SG_SG_SK_SK_SK_SG_SN_SN_SP_SP_SR_SG_SG_NSQ_INS5_IJiNS_17integral_constantIiLi128EEEEEELb0EEENSF_INS2A_IiLi2EEEEEEEENS5_IJSU_SV_SW_SX_SY_SZ_S10_S11_S12_S13_S14_S15_S16_S17_S18_S19_S1A_NST_IJLi23EEEES1J_NST_IJLi24EEEEEEENS5_IJS1C_S10_S11_S12_S13_S14_S1D_S1E_S1F_S1G_S1H_S17_S18_S1A_S19_S1I_S1J_NST_IJLi26EEEENST_IJLi27ELi28EEEENST_IJLi29EEEEEEENST_IJLi26ELi27ELi28ELi29EEEElEENSB_INS5_IJSR_SP_SP_SR_SG_SG_S2D_S2F_EEENS5_IJSU_SV_SW_SY_SX_SZ_S11_S10_EEENS5_IJS1P_SX_SY_S1Q_S11_S12_NST_IJLi9ELi10EEEES1D_EEENST_IJLi8ELi9ELi10ELi11EEEElEENS5_IJNSB_INS5_IJSK_SP_SP_NSQ_INS5_IJiS2E_NS2A_IiLi64EEEEEELb0EEES2Y_EEENS5_IJSU_SV_SW_SX_SY_EEENS5_IJS1P_SX_SY_NST_IJLi5ELi6ELi7EEEENST_IJLi8ELi9ELi10EEEEEEENST_IJLi5ELi6ELi7ELi8ELi9ELi10EEEElEEEEES35_NS_31BlockToCTileMap_M00_N00_M01_N01ILi128ELi128ES1Y_Lb0EEENS1_30ComputePtrOffsetOfStridedBatchILi1ELi1ELi1EvEELb0ELb0EEEvPKT0_S3D_T1_PT2_T3_T4_T5_iT6_T7_T8_T9_T10_T11_.num_named_barrier, 0
	.set _ZN2ck16tensor_operation6device12_GLOBAL__N_137kernel_grouped_conv_fwd_dl_multiple_dINS_32GridwiseGemmDlMultipleD_km_kn_mnILi256EDF16_fNS_5TupleIJDF16_EEEDF16_NS0_12element_wise11PassThroughES8_NS7_7AddReluELNS_25InMemoryDataOperationEnumE0ENS_16TensorDescriptorINS5_IJNS_5EmbedINS5_IJiiiiiEEESD_Lb0EEENS_11PassThroughIiEENS_3PadIiiiLb0EEESI_SI_SG_SG_NSC_INS5_IJiiEEESJ_Lb0EEESK_SK_SG_NS_23Merge_v2_magic_divisionINS5_IJiiiiEEEEESN_NS_8RightPadIiiLb0EEESP_NS_7UnMergeISJ_Lb0EEESG_EEENS5_IJNS_8SequenceIJLi0EEEENST_IJLi1EEEENST_IJLi2EEEENST_IJLi3EEEENST_IJLi4EEEENST_IJLi5EEEENST_IJLi6EEEENST_IJLi7EEEENST_IJLi8EEEENST_IJLi9EEEENST_IJLi10EEEENST_IJLi11ELi13ELi15ELi17EEEENST_IJLi12ELi14ELi16ELi18EEEENST_IJLi19EEEENST_IJLi20EEEENST_IJLi22EEEENST_IJLi21EEEEEEENS5_IJNST_IJLi1ELi2ELi3ELi4ELi5EEEES10_S11_S12_S13_S14_NST_IJLi11EEEENST_IJLi12ELi13EEEENST_IJLi14ELi15EEEENST_IJLi16ELi17EEEENST_IJLi18EEEES17_S18_S1A_S19_NST_IJLi23ELi24EEEENST_IJLi25EEEEEEENST_IJLi23ELi25ELi24EEEElEENSB_INS5_IJSR_SP_SP_SR_SG_EEENS5_IJSU_SV_SW_SY_SX_EEENS5_IJNST_IJLi1ELi2EEEESX_SY_NST_IJLi5ELi6EEEES11_EEENST_IJLi5ELi7ELi6EEEElEENSB_INS5_IJSK_SP_SP_EEENS5_IJSU_SV_SW_EEENS5_IJS1P_SX_SY_EEENST_IJLi3ELi4EEEElEELi128ELi128ELi16ELi2ELi4ELi4ELi1ENST_IJLi8ELi2EEEES1Z_NST_IJLi8ELi1ELi1ELi2EEEENST_IJLi2ELi1ELi128ELi1EEEENST_IJLi1ELi2ELi0ELi3EEEES22_NST_IJLi4ELi1ELi1ELi2EEEES22_NST_IJLi1ELi1ELi1ELi2EEEES20_S21_S22_S22_S23_S22_S24_NST_IJLi0ELi1ELi2ELi3ELi4ELi5EEEELi5ELi4EEEDF16_NS5_IJPKDF16_EEEDF16_S8_S8_S9_NSB_INS5_IJSE_SG_SI_SI_SI_SG_SG_SK_SK_SK_SG_SN_SN_SP_SP_SR_SG_SG_NSQ_INS5_IJiNS_17integral_constantIiLi128EEEEEELb0EEENSF_INS2A_IiLi2EEEEEEEENS5_IJSU_SV_SW_SX_SY_SZ_S10_S11_S12_S13_S14_S15_S16_S17_S18_S19_S1A_NST_IJLi23EEEES1J_NST_IJLi24EEEEEEENS5_IJS1C_S10_S11_S12_S13_S14_S1D_S1E_S1F_S1G_S1H_S17_S18_S1A_S19_S1I_S1J_NST_IJLi26EEEENST_IJLi27ELi28EEEENST_IJLi29EEEEEEENST_IJLi26ELi27ELi28ELi29EEEElEENSB_INS5_IJSR_SP_SP_SR_SG_SG_S2D_S2F_EEENS5_IJSU_SV_SW_SY_SX_SZ_S11_S10_EEENS5_IJS1P_SX_SY_S1Q_S11_S12_NST_IJLi9ELi10EEEES1D_EEENST_IJLi8ELi9ELi10ELi11EEEElEENS5_IJNSB_INS5_IJSK_SP_SP_NSQ_INS5_IJiS2E_NS2A_IiLi64EEEEEELb0EEES2Y_EEENS5_IJSU_SV_SW_SX_SY_EEENS5_IJS1P_SX_SY_NST_IJLi5ELi6ELi7EEEENST_IJLi8ELi9ELi10EEEEEEENST_IJLi5ELi6ELi7ELi8ELi9ELi10EEEElEEEEES35_NS_31BlockToCTileMap_M00_N00_M01_N01ILi128ELi128ES1Y_Lb0EEENS1_30ComputePtrOffsetOfStridedBatchILi1ELi1ELi1EvEELb0ELb0EEEvPKT0_S3D_T1_PT2_T3_T4_T5_iT6_T7_T8_T9_T10_T11_.private_seg_size, 0
	.set _ZN2ck16tensor_operation6device12_GLOBAL__N_137kernel_grouped_conv_fwd_dl_multiple_dINS_32GridwiseGemmDlMultipleD_km_kn_mnILi256EDF16_fNS_5TupleIJDF16_EEEDF16_NS0_12element_wise11PassThroughES8_NS7_7AddReluELNS_25InMemoryDataOperationEnumE0ENS_16TensorDescriptorINS5_IJNS_5EmbedINS5_IJiiiiiEEESD_Lb0EEENS_11PassThroughIiEENS_3PadIiiiLb0EEESI_SI_SG_SG_NSC_INS5_IJiiEEESJ_Lb0EEESK_SK_SG_NS_23Merge_v2_magic_divisionINS5_IJiiiiEEEEESN_NS_8RightPadIiiLb0EEESP_NS_7UnMergeISJ_Lb0EEESG_EEENS5_IJNS_8SequenceIJLi0EEEENST_IJLi1EEEENST_IJLi2EEEENST_IJLi3EEEENST_IJLi4EEEENST_IJLi5EEEENST_IJLi6EEEENST_IJLi7EEEENST_IJLi8EEEENST_IJLi9EEEENST_IJLi10EEEENST_IJLi11ELi13ELi15ELi17EEEENST_IJLi12ELi14ELi16ELi18EEEENST_IJLi19EEEENST_IJLi20EEEENST_IJLi22EEEENST_IJLi21EEEEEEENS5_IJNST_IJLi1ELi2ELi3ELi4ELi5EEEES10_S11_S12_S13_S14_NST_IJLi11EEEENST_IJLi12ELi13EEEENST_IJLi14ELi15EEEENST_IJLi16ELi17EEEENST_IJLi18EEEES17_S18_S1A_S19_NST_IJLi23ELi24EEEENST_IJLi25EEEEEEENST_IJLi23ELi25ELi24EEEElEENSB_INS5_IJSR_SP_SP_SR_SG_EEENS5_IJSU_SV_SW_SY_SX_EEENS5_IJNST_IJLi1ELi2EEEESX_SY_NST_IJLi5ELi6EEEES11_EEENST_IJLi5ELi7ELi6EEEElEENSB_INS5_IJSK_SP_SP_EEENS5_IJSU_SV_SW_EEENS5_IJS1P_SX_SY_EEENST_IJLi3ELi4EEEElEELi128ELi128ELi16ELi2ELi4ELi4ELi1ENST_IJLi8ELi2EEEES1Z_NST_IJLi8ELi1ELi1ELi2EEEENST_IJLi2ELi1ELi128ELi1EEEENST_IJLi1ELi2ELi0ELi3EEEES22_NST_IJLi4ELi1ELi1ELi2EEEES22_NST_IJLi1ELi1ELi1ELi2EEEES20_S21_S22_S22_S23_S22_S24_NST_IJLi0ELi1ELi2ELi3ELi4ELi5EEEELi5ELi4EEEDF16_NS5_IJPKDF16_EEEDF16_S8_S8_S9_NSB_INS5_IJSE_SG_SI_SI_SI_SG_SG_SK_SK_SK_SG_SN_SN_SP_SP_SR_SG_SG_NSQ_INS5_IJiNS_17integral_constantIiLi128EEEEEELb0EEENSF_INS2A_IiLi2EEEEEEEENS5_IJSU_SV_SW_SX_SY_SZ_S10_S11_S12_S13_S14_S15_S16_S17_S18_S19_S1A_NST_IJLi23EEEES1J_NST_IJLi24EEEEEEENS5_IJS1C_S10_S11_S12_S13_S14_S1D_S1E_S1F_S1G_S1H_S17_S18_S1A_S19_S1I_S1J_NST_IJLi26EEEENST_IJLi27ELi28EEEENST_IJLi29EEEEEEENST_IJLi26ELi27ELi28ELi29EEEElEENSB_INS5_IJSR_SP_SP_SR_SG_SG_S2D_S2F_EEENS5_IJSU_SV_SW_SY_SX_SZ_S11_S10_EEENS5_IJS1P_SX_SY_S1Q_S11_S12_NST_IJLi9ELi10EEEES1D_EEENST_IJLi8ELi9ELi10ELi11EEEElEENS5_IJNSB_INS5_IJSK_SP_SP_NSQ_INS5_IJiS2E_NS2A_IiLi64EEEEEELb0EEES2Y_EEENS5_IJSU_SV_SW_SX_SY_EEENS5_IJS1P_SX_SY_NST_IJLi5ELi6ELi7EEEENST_IJLi8ELi9ELi10EEEEEEENST_IJLi5ELi6ELi7ELi8ELi9ELi10EEEElEEEEES35_NS_31BlockToCTileMap_M00_N00_M01_N01ILi128ELi128ES1Y_Lb0EEENS1_30ComputePtrOffsetOfStridedBatchILi1ELi1ELi1EvEELb0ELb0EEEvPKT0_S3D_T1_PT2_T3_T4_T5_iT6_T7_T8_T9_T10_T11_.uses_vcc, 1
	.set _ZN2ck16tensor_operation6device12_GLOBAL__N_137kernel_grouped_conv_fwd_dl_multiple_dINS_32GridwiseGemmDlMultipleD_km_kn_mnILi256EDF16_fNS_5TupleIJDF16_EEEDF16_NS0_12element_wise11PassThroughES8_NS7_7AddReluELNS_25InMemoryDataOperationEnumE0ENS_16TensorDescriptorINS5_IJNS_5EmbedINS5_IJiiiiiEEESD_Lb0EEENS_11PassThroughIiEENS_3PadIiiiLb0EEESI_SI_SG_SG_NSC_INS5_IJiiEEESJ_Lb0EEESK_SK_SG_NS_23Merge_v2_magic_divisionINS5_IJiiiiEEEEESN_NS_8RightPadIiiLb0EEESP_NS_7UnMergeISJ_Lb0EEESG_EEENS5_IJNS_8SequenceIJLi0EEEENST_IJLi1EEEENST_IJLi2EEEENST_IJLi3EEEENST_IJLi4EEEENST_IJLi5EEEENST_IJLi6EEEENST_IJLi7EEEENST_IJLi8EEEENST_IJLi9EEEENST_IJLi10EEEENST_IJLi11ELi13ELi15ELi17EEEENST_IJLi12ELi14ELi16ELi18EEEENST_IJLi19EEEENST_IJLi20EEEENST_IJLi22EEEENST_IJLi21EEEEEEENS5_IJNST_IJLi1ELi2ELi3ELi4ELi5EEEES10_S11_S12_S13_S14_NST_IJLi11EEEENST_IJLi12ELi13EEEENST_IJLi14ELi15EEEENST_IJLi16ELi17EEEENST_IJLi18EEEES17_S18_S1A_S19_NST_IJLi23ELi24EEEENST_IJLi25EEEEEEENST_IJLi23ELi25ELi24EEEElEENSB_INS5_IJSR_SP_SP_SR_SG_EEENS5_IJSU_SV_SW_SY_SX_EEENS5_IJNST_IJLi1ELi2EEEESX_SY_NST_IJLi5ELi6EEEES11_EEENST_IJLi5ELi7ELi6EEEElEENSB_INS5_IJSK_SP_SP_EEENS5_IJSU_SV_SW_EEENS5_IJS1P_SX_SY_EEENST_IJLi3ELi4EEEElEELi128ELi128ELi16ELi2ELi4ELi4ELi1ENST_IJLi8ELi2EEEES1Z_NST_IJLi8ELi1ELi1ELi2EEEENST_IJLi2ELi1ELi128ELi1EEEENST_IJLi1ELi2ELi0ELi3EEEES22_NST_IJLi4ELi1ELi1ELi2EEEES22_NST_IJLi1ELi1ELi1ELi2EEEES20_S21_S22_S22_S23_S22_S24_NST_IJLi0ELi1ELi2ELi3ELi4ELi5EEEELi5ELi4EEEDF16_NS5_IJPKDF16_EEEDF16_S8_S8_S9_NSB_INS5_IJSE_SG_SI_SI_SI_SG_SG_SK_SK_SK_SG_SN_SN_SP_SP_SR_SG_SG_NSQ_INS5_IJiNS_17integral_constantIiLi128EEEEEELb0EEENSF_INS2A_IiLi2EEEEEEEENS5_IJSU_SV_SW_SX_SY_SZ_S10_S11_S12_S13_S14_S15_S16_S17_S18_S19_S1A_NST_IJLi23EEEES1J_NST_IJLi24EEEEEEENS5_IJS1C_S10_S11_S12_S13_S14_S1D_S1E_S1F_S1G_S1H_S17_S18_S1A_S19_S1I_S1J_NST_IJLi26EEEENST_IJLi27ELi28EEEENST_IJLi29EEEEEEENST_IJLi26ELi27ELi28ELi29EEEElEENSB_INS5_IJSR_SP_SP_SR_SG_SG_S2D_S2F_EEENS5_IJSU_SV_SW_SY_SX_SZ_S11_S10_EEENS5_IJS1P_SX_SY_S1Q_S11_S12_NST_IJLi9ELi10EEEES1D_EEENST_IJLi8ELi9ELi10ELi11EEEElEENS5_IJNSB_INS5_IJSK_SP_SP_NSQ_INS5_IJiS2E_NS2A_IiLi64EEEEEELb0EEES2Y_EEENS5_IJSU_SV_SW_SX_SY_EEENS5_IJS1P_SX_SY_NST_IJLi5ELi6ELi7EEEENST_IJLi8ELi9ELi10EEEEEEENST_IJLi5ELi6ELi7ELi8ELi9ELi10EEEElEEEEES35_NS_31BlockToCTileMap_M00_N00_M01_N01ILi128ELi128ES1Y_Lb0EEENS1_30ComputePtrOffsetOfStridedBatchILi1ELi1ELi1EvEELb0ELb0EEEvPKT0_S3D_T1_PT2_T3_T4_T5_iT6_T7_T8_T9_T10_T11_.uses_flat_scratch, 0
	.set _ZN2ck16tensor_operation6device12_GLOBAL__N_137kernel_grouped_conv_fwd_dl_multiple_dINS_32GridwiseGemmDlMultipleD_km_kn_mnILi256EDF16_fNS_5TupleIJDF16_EEEDF16_NS0_12element_wise11PassThroughES8_NS7_7AddReluELNS_25InMemoryDataOperationEnumE0ENS_16TensorDescriptorINS5_IJNS_5EmbedINS5_IJiiiiiEEESD_Lb0EEENS_11PassThroughIiEENS_3PadIiiiLb0EEESI_SI_SG_SG_NSC_INS5_IJiiEEESJ_Lb0EEESK_SK_SG_NS_23Merge_v2_magic_divisionINS5_IJiiiiEEEEESN_NS_8RightPadIiiLb0EEESP_NS_7UnMergeISJ_Lb0EEESG_EEENS5_IJNS_8SequenceIJLi0EEEENST_IJLi1EEEENST_IJLi2EEEENST_IJLi3EEEENST_IJLi4EEEENST_IJLi5EEEENST_IJLi6EEEENST_IJLi7EEEENST_IJLi8EEEENST_IJLi9EEEENST_IJLi10EEEENST_IJLi11ELi13ELi15ELi17EEEENST_IJLi12ELi14ELi16ELi18EEEENST_IJLi19EEEENST_IJLi20EEEENST_IJLi22EEEENST_IJLi21EEEEEEENS5_IJNST_IJLi1ELi2ELi3ELi4ELi5EEEES10_S11_S12_S13_S14_NST_IJLi11EEEENST_IJLi12ELi13EEEENST_IJLi14ELi15EEEENST_IJLi16ELi17EEEENST_IJLi18EEEES17_S18_S1A_S19_NST_IJLi23ELi24EEEENST_IJLi25EEEEEEENST_IJLi23ELi25ELi24EEEElEENSB_INS5_IJSR_SP_SP_SR_SG_EEENS5_IJSU_SV_SW_SY_SX_EEENS5_IJNST_IJLi1ELi2EEEESX_SY_NST_IJLi5ELi6EEEES11_EEENST_IJLi5ELi7ELi6EEEElEENSB_INS5_IJSK_SP_SP_EEENS5_IJSU_SV_SW_EEENS5_IJS1P_SX_SY_EEENST_IJLi3ELi4EEEElEELi128ELi128ELi16ELi2ELi4ELi4ELi1ENST_IJLi8ELi2EEEES1Z_NST_IJLi8ELi1ELi1ELi2EEEENST_IJLi2ELi1ELi128ELi1EEEENST_IJLi1ELi2ELi0ELi3EEEES22_NST_IJLi4ELi1ELi1ELi2EEEES22_NST_IJLi1ELi1ELi1ELi2EEEES20_S21_S22_S22_S23_S22_S24_NST_IJLi0ELi1ELi2ELi3ELi4ELi5EEEELi5ELi4EEEDF16_NS5_IJPKDF16_EEEDF16_S8_S8_S9_NSB_INS5_IJSE_SG_SI_SI_SI_SG_SG_SK_SK_SK_SG_SN_SN_SP_SP_SR_SG_SG_NSQ_INS5_IJiNS_17integral_constantIiLi128EEEEEELb0EEENSF_INS2A_IiLi2EEEEEEEENS5_IJSU_SV_SW_SX_SY_SZ_S10_S11_S12_S13_S14_S15_S16_S17_S18_S19_S1A_NST_IJLi23EEEES1J_NST_IJLi24EEEEEEENS5_IJS1C_S10_S11_S12_S13_S14_S1D_S1E_S1F_S1G_S1H_S17_S18_S1A_S19_S1I_S1J_NST_IJLi26EEEENST_IJLi27ELi28EEEENST_IJLi29EEEEEEENST_IJLi26ELi27ELi28ELi29EEEElEENSB_INS5_IJSR_SP_SP_SR_SG_SG_S2D_S2F_EEENS5_IJSU_SV_SW_SY_SX_SZ_S11_S10_EEENS5_IJS1P_SX_SY_S1Q_S11_S12_NST_IJLi9ELi10EEEES1D_EEENST_IJLi8ELi9ELi10ELi11EEEElEENS5_IJNSB_INS5_IJSK_SP_SP_NSQ_INS5_IJiS2E_NS2A_IiLi64EEEEEELb0EEES2Y_EEENS5_IJSU_SV_SW_SX_SY_EEENS5_IJS1P_SX_SY_NST_IJLi5ELi6ELi7EEEENST_IJLi8ELi9ELi10EEEEEEENST_IJLi5ELi6ELi7ELi8ELi9ELi10EEEElEEEEES35_NS_31BlockToCTileMap_M00_N00_M01_N01ILi128ELi128ES1Y_Lb0EEENS1_30ComputePtrOffsetOfStridedBatchILi1ELi1ELi1EvEELb0ELb0EEEvPKT0_S3D_T1_PT2_T3_T4_T5_iT6_T7_T8_T9_T10_T11_.has_dyn_sized_stack, 0
	.set _ZN2ck16tensor_operation6device12_GLOBAL__N_137kernel_grouped_conv_fwd_dl_multiple_dINS_32GridwiseGemmDlMultipleD_km_kn_mnILi256EDF16_fNS_5TupleIJDF16_EEEDF16_NS0_12element_wise11PassThroughES8_NS7_7AddReluELNS_25InMemoryDataOperationEnumE0ENS_16TensorDescriptorINS5_IJNS_5EmbedINS5_IJiiiiiEEESD_Lb0EEENS_11PassThroughIiEENS_3PadIiiiLb0EEESI_SI_SG_SG_NSC_INS5_IJiiEEESJ_Lb0EEESK_SK_SG_NS_23Merge_v2_magic_divisionINS5_IJiiiiEEEEESN_NS_8RightPadIiiLb0EEESP_NS_7UnMergeISJ_Lb0EEESG_EEENS5_IJNS_8SequenceIJLi0EEEENST_IJLi1EEEENST_IJLi2EEEENST_IJLi3EEEENST_IJLi4EEEENST_IJLi5EEEENST_IJLi6EEEENST_IJLi7EEEENST_IJLi8EEEENST_IJLi9EEEENST_IJLi10EEEENST_IJLi11ELi13ELi15ELi17EEEENST_IJLi12ELi14ELi16ELi18EEEENST_IJLi19EEEENST_IJLi20EEEENST_IJLi22EEEENST_IJLi21EEEEEEENS5_IJNST_IJLi1ELi2ELi3ELi4ELi5EEEES10_S11_S12_S13_S14_NST_IJLi11EEEENST_IJLi12ELi13EEEENST_IJLi14ELi15EEEENST_IJLi16ELi17EEEENST_IJLi18EEEES17_S18_S1A_S19_NST_IJLi23ELi24EEEENST_IJLi25EEEEEEENST_IJLi23ELi25ELi24EEEElEENSB_INS5_IJSR_SP_SP_SR_SG_EEENS5_IJSU_SV_SW_SY_SX_EEENS5_IJNST_IJLi1ELi2EEEESX_SY_NST_IJLi5ELi6EEEES11_EEENST_IJLi5ELi7ELi6EEEElEENSB_INS5_IJSK_SP_SP_EEENS5_IJSU_SV_SW_EEENS5_IJS1P_SX_SY_EEENST_IJLi3ELi4EEEElEELi128ELi128ELi16ELi2ELi4ELi4ELi1ENST_IJLi8ELi2EEEES1Z_NST_IJLi8ELi1ELi1ELi2EEEENST_IJLi2ELi1ELi128ELi1EEEENST_IJLi1ELi2ELi0ELi3EEEES22_NST_IJLi4ELi1ELi1ELi2EEEES22_NST_IJLi1ELi1ELi1ELi2EEEES20_S21_S22_S22_S23_S22_S24_NST_IJLi0ELi1ELi2ELi3ELi4ELi5EEEELi5ELi4EEEDF16_NS5_IJPKDF16_EEEDF16_S8_S8_S9_NSB_INS5_IJSE_SG_SI_SI_SI_SG_SG_SK_SK_SK_SG_SN_SN_SP_SP_SR_SG_SG_NSQ_INS5_IJiNS_17integral_constantIiLi128EEEEEELb0EEENSF_INS2A_IiLi2EEEEEEEENS5_IJSU_SV_SW_SX_SY_SZ_S10_S11_S12_S13_S14_S15_S16_S17_S18_S19_S1A_NST_IJLi23EEEES1J_NST_IJLi24EEEEEEENS5_IJS1C_S10_S11_S12_S13_S14_S1D_S1E_S1F_S1G_S1H_S17_S18_S1A_S19_S1I_S1J_NST_IJLi26EEEENST_IJLi27ELi28EEEENST_IJLi29EEEEEEENST_IJLi26ELi27ELi28ELi29EEEElEENSB_INS5_IJSR_SP_SP_SR_SG_SG_S2D_S2F_EEENS5_IJSU_SV_SW_SY_SX_SZ_S11_S10_EEENS5_IJS1P_SX_SY_S1Q_S11_S12_NST_IJLi9ELi10EEEES1D_EEENST_IJLi8ELi9ELi10ELi11EEEElEENS5_IJNSB_INS5_IJSK_SP_SP_NSQ_INS5_IJiS2E_NS2A_IiLi64EEEEEELb0EEES2Y_EEENS5_IJSU_SV_SW_SX_SY_EEENS5_IJS1P_SX_SY_NST_IJLi5ELi6ELi7EEEENST_IJLi8ELi9ELi10EEEEEEENST_IJLi5ELi6ELi7ELi8ELi9ELi10EEEElEEEEES35_NS_31BlockToCTileMap_M00_N00_M01_N01ILi128ELi128ES1Y_Lb0EEENS1_30ComputePtrOffsetOfStridedBatchILi1ELi1ELi1EvEELb0ELb0EEEvPKT0_S3D_T1_PT2_T3_T4_T5_iT6_T7_T8_T9_T10_T11_.has_recursion, 0
	.set _ZN2ck16tensor_operation6device12_GLOBAL__N_137kernel_grouped_conv_fwd_dl_multiple_dINS_32GridwiseGemmDlMultipleD_km_kn_mnILi256EDF16_fNS_5TupleIJDF16_EEEDF16_NS0_12element_wise11PassThroughES8_NS7_7AddReluELNS_25InMemoryDataOperationEnumE0ENS_16TensorDescriptorINS5_IJNS_5EmbedINS5_IJiiiiiEEESD_Lb0EEENS_11PassThroughIiEENS_3PadIiiiLb0EEESI_SI_SG_SG_NSC_INS5_IJiiEEESJ_Lb0EEESK_SK_SG_NS_23Merge_v2_magic_divisionINS5_IJiiiiEEEEESN_NS_8RightPadIiiLb0EEESP_NS_7UnMergeISJ_Lb0EEESG_EEENS5_IJNS_8SequenceIJLi0EEEENST_IJLi1EEEENST_IJLi2EEEENST_IJLi3EEEENST_IJLi4EEEENST_IJLi5EEEENST_IJLi6EEEENST_IJLi7EEEENST_IJLi8EEEENST_IJLi9EEEENST_IJLi10EEEENST_IJLi11ELi13ELi15ELi17EEEENST_IJLi12ELi14ELi16ELi18EEEENST_IJLi19EEEENST_IJLi20EEEENST_IJLi22EEEENST_IJLi21EEEEEEENS5_IJNST_IJLi1ELi2ELi3ELi4ELi5EEEES10_S11_S12_S13_S14_NST_IJLi11EEEENST_IJLi12ELi13EEEENST_IJLi14ELi15EEEENST_IJLi16ELi17EEEENST_IJLi18EEEES17_S18_S1A_S19_NST_IJLi23ELi24EEEENST_IJLi25EEEEEEENST_IJLi23ELi25ELi24EEEElEENSB_INS5_IJSR_SP_SP_SR_SG_EEENS5_IJSU_SV_SW_SY_SX_EEENS5_IJNST_IJLi1ELi2EEEESX_SY_NST_IJLi5ELi6EEEES11_EEENST_IJLi5ELi7ELi6EEEElEENSB_INS5_IJSK_SP_SP_EEENS5_IJSU_SV_SW_EEENS5_IJS1P_SX_SY_EEENST_IJLi3ELi4EEEElEELi128ELi128ELi16ELi2ELi4ELi4ELi1ENST_IJLi8ELi2EEEES1Z_NST_IJLi8ELi1ELi1ELi2EEEENST_IJLi2ELi1ELi128ELi1EEEENST_IJLi1ELi2ELi0ELi3EEEES22_NST_IJLi4ELi1ELi1ELi2EEEES22_NST_IJLi1ELi1ELi1ELi2EEEES20_S21_S22_S22_S23_S22_S24_NST_IJLi0ELi1ELi2ELi3ELi4ELi5EEEELi5ELi4EEEDF16_NS5_IJPKDF16_EEEDF16_S8_S8_S9_NSB_INS5_IJSE_SG_SI_SI_SI_SG_SG_SK_SK_SK_SG_SN_SN_SP_SP_SR_SG_SG_NSQ_INS5_IJiNS_17integral_constantIiLi128EEEEEELb0EEENSF_INS2A_IiLi2EEEEEEEENS5_IJSU_SV_SW_SX_SY_SZ_S10_S11_S12_S13_S14_S15_S16_S17_S18_S19_S1A_NST_IJLi23EEEES1J_NST_IJLi24EEEEEEENS5_IJS1C_S10_S11_S12_S13_S14_S1D_S1E_S1F_S1G_S1H_S17_S18_S1A_S19_S1I_S1J_NST_IJLi26EEEENST_IJLi27ELi28EEEENST_IJLi29EEEEEEENST_IJLi26ELi27ELi28ELi29EEEElEENSB_INS5_IJSR_SP_SP_SR_SG_SG_S2D_S2F_EEENS5_IJSU_SV_SW_SY_SX_SZ_S11_S10_EEENS5_IJS1P_SX_SY_S1Q_S11_S12_NST_IJLi9ELi10EEEES1D_EEENST_IJLi8ELi9ELi10ELi11EEEElEENS5_IJNSB_INS5_IJSK_SP_SP_NSQ_INS5_IJiS2E_NS2A_IiLi64EEEEEELb0EEES2Y_EEENS5_IJSU_SV_SW_SX_SY_EEENS5_IJS1P_SX_SY_NST_IJLi5ELi6ELi7EEEENST_IJLi8ELi9ELi10EEEEEEENST_IJLi5ELi6ELi7ELi8ELi9ELi10EEEElEEEEES35_NS_31BlockToCTileMap_M00_N00_M01_N01ILi128ELi128ES1Y_Lb0EEENS1_30ComputePtrOffsetOfStridedBatchILi1ELi1ELi1EvEELb0ELb0EEEvPKT0_S3D_T1_PT2_T3_T4_T5_iT6_T7_T8_T9_T10_T11_.has_indirect_call, 0
	.section	.AMDGPU.csdata,"",@progbits
; Kernel info:
; codeLenInByte = 13572
; TotalNumSgprs: 84
; NumVgprs: 120
; ScratchSize: 0
; MemoryBound: 0
; FloatMode: 240
; IeeeMode: 1
; LDSByteSize: 32768 bytes/workgroup (compile time only)
; SGPRBlocks: 12
; VGPRBlocks: 29
; NumSGPRsForWavesPerEU: 102
; NumVGPRsForWavesPerEU: 120
; Occupancy: 2
; WaveLimiterHint : 0
; COMPUTE_PGM_RSRC2:SCRATCH_EN: 0
; COMPUTE_PGM_RSRC2:USER_SGPR: 6
; COMPUTE_PGM_RSRC2:TRAP_HANDLER: 0
; COMPUTE_PGM_RSRC2:TGID_X_EN: 1
; COMPUTE_PGM_RSRC2:TGID_Y_EN: 0
; COMPUTE_PGM_RSRC2:TGID_Z_EN: 0
; COMPUTE_PGM_RSRC2:TIDIG_COMP_CNT: 0
	.section	.AMDGPU.gpr_maximums,"",@progbits
	.set amdgpu.max_num_vgpr, 0
	.set amdgpu.max_num_agpr, 0
	.set amdgpu.max_num_sgpr, 0
	.section	.AMDGPU.csdata,"",@progbits
	.type	__hip_cuid_2b883d842d04ea2d,@object ; @__hip_cuid_2b883d842d04ea2d
	.section	.bss,"aw",@nobits
	.globl	__hip_cuid_2b883d842d04ea2d
__hip_cuid_2b883d842d04ea2d:
	.byte	0                               ; 0x0
	.size	__hip_cuid_2b883d842d04ea2d, 1

	.ident	"AMD clang version 22.0.0git (https://github.com/RadeonOpenCompute/llvm-project roc-7.2.4 26084 f58b06dce1f9c15707c5f808fd002e18c2accf7e)"
	.section	".note.GNU-stack","",@progbits
	.addrsig
	.addrsig_sym __hip_cuid_2b883d842d04ea2d
	.amdgpu_metadata
---
amdhsa.kernels:
  - .args:           []
    .group_segment_fixed_size: 0
    .kernarg_segment_align: 4
    .kernarg_segment_size: 0
    .language:       OpenCL C
    .language_version:
      - 2
      - 0
    .max_flat_workgroup_size: 1024
    .name:           _ZN2ckL12flush_icacheEv
    .private_segment_fixed_size: 0
    .sgpr_count:     4
    .sgpr_spill_count: 0
    .symbol:         _ZN2ckL12flush_icacheEv.kd
    .uniform_work_group_size: 1
    .uses_dynamic_stack: false
    .vgpr_count:     0
    .vgpr_spill_count: 0
    .wavefront_size: 64
  - .args:
      - .actual_access:  read_only
        .address_space:  global
        .offset:         0
        .size:           8
        .value_kind:     global_buffer
      - .actual_access:  read_only
        .address_space:  global
        .offset:         8
        .size:           8
        .value_kind:     global_buffer
      - .address_space:  global
        .offset:         16
        .size:           8
        .value_kind:     global_buffer
      - .actual_access:  write_only
        .address_space:  global
        .offset:         24
        .size:           8
        .value_kind:     global_buffer
      - .offset:         32
        .size:           1
        .value_kind:     by_value
      - .offset:         33
        .size:           1
        .value_kind:     by_value
      - .offset:         34
        .size:           1
        .value_kind:     by_value
      - .offset:         36
        .size:           4
        .value_kind:     by_value
      - .offset:         40
        .size:           200
        .value_kind:     by_value
      - .offset:         240
        .size:           96
        .value_kind:     by_value
      - .offset:         336
        .size:           80
        .value_kind:     by_value
      - .offset:         416
        .size:           80
        .value_kind:     by_value
      - .offset:         496
        .size:           112
        .value_kind:     by_value
      - .offset:         608
        .size:           40
        .value_kind:     by_value
      - .offset:         648
        .size:           4
        .value_kind:     hidden_block_count_x
      - .offset:         652
        .size:           4
        .value_kind:     hidden_block_count_y
      - .offset:         656
        .size:           4
        .value_kind:     hidden_block_count_z
      - .offset:         660
        .size:           2
        .value_kind:     hidden_group_size_x
      - .offset:         662
        .size:           2
        .value_kind:     hidden_group_size_y
      - .offset:         664
        .size:           2
        .value_kind:     hidden_group_size_z
      - .offset:         666
        .size:           2
        .value_kind:     hidden_remainder_x
      - .offset:         668
        .size:           2
        .value_kind:     hidden_remainder_y
      - .offset:         670
        .size:           2
        .value_kind:     hidden_remainder_z
      - .offset:         688
        .size:           8
        .value_kind:     hidden_global_offset_x
      - .offset:         696
        .size:           8
        .value_kind:     hidden_global_offset_y
      - .offset:         704
        .size:           8
        .value_kind:     hidden_global_offset_z
      - .offset:         712
        .size:           2
        .value_kind:     hidden_grid_dims
    .group_segment_fixed_size: 32768
    .kernarg_segment_align: 8
    .kernarg_segment_size: 904
    .language:       OpenCL C
    .language_version:
      - 2
      - 0
    .max_flat_workgroup_size: 256
    .name:           _ZN2ck16tensor_operation6device12_GLOBAL__N_137kernel_grouped_conv_fwd_dl_multiple_dINS_32GridwiseGemmDlMultipleD_km_kn_mnILi256EDF16_fNS_5TupleIJDF16_EEEDF16_NS0_12element_wise11PassThroughES8_NS7_7AddReluELNS_25InMemoryDataOperationEnumE0ENS_16TensorDescriptorINS5_IJNS_5EmbedINS5_IJiiiEEESD_Lb0EEENS_11PassThroughIiEENS_3PadIiiiLb0EEESG_SG_NSC_INS5_IJiiEEESJ_Lb0EEESG_NS_23Merge_v2_magic_divisionISJ_EESM_NS_8RightPadIiiLb0EEESO_NS_7UnMergeISJ_Lb0EEESG_EEENS5_IJNS_8SequenceIJLi0EEEENSS_IJLi1EEEENSS_IJLi2EEEENSS_IJLi3EEEENSS_IJLi4EEEENSS_IJLi5EEEENSS_IJLi6EEEENSS_IJLi7ELi9EEEENSS_IJLi8ELi10EEEENSS_IJLi11EEEENSS_IJLi12EEEENSS_IJLi14EEEENSS_IJLi13EEEEEEENS5_IJNSS_IJLi1ELi2ELi3EEEESX_SY_SZ_NSS_IJLi7EEEENSS_IJLi8ELi9EEEENSS_IJLi10EEEES12_S13_S15_S14_NSS_IJLi15ELi16EEEENSS_IJLi17EEEEEEENSS_IJLi15ELi17ELi16EEEElEENSB_INS5_IJSQ_SO_SO_SQ_SG_EEENS5_IJST_SU_SV_SX_SW_EEENS5_IJNSS_IJLi1ELi2EEEESW_SX_NSS_IJLi5ELi6EEEES18_EEENSS_IJLi5ELi7ELi6EEEElEENSB_INS5_IJSK_SO_SO_EEENS5_IJST_SU_SV_EEENS5_IJS1I_SW_SX_EEENSS_IJLi3ELi4EEEElEELi128ELi128ELi16ELi2ELi4ELi4ELi1ENSS_IJLi8ELi2EEEES1S_NSS_IJLi8ELi1ELi1ELi2EEEENSS_IJLi2ELi1ELi128ELi1EEEENSS_IJLi1ELi2ELi0ELi3EEEES1V_NSS_IJLi4ELi1ELi1ELi2EEEES1V_NSS_IJLi1ELi1ELi1ELi2EEEES1T_S1U_S1V_S1V_S1W_S1V_S1X_NSS_IJLi0ELi1ELi2ELi3ELi4ELi5EEEELi5ELi4EEEDF16_NS5_IJPKDF16_EEEDF16_S8_S8_S9_NSB_INS5_IJSE_SG_SI_SG_SG_SK_SG_SM_SM_SO_SO_SQ_SG_SG_NSP_INS5_IJiNS_17integral_constantIiLi128EEEEEELb0EEENSF_INS23_IiLi2EEEEEEEENS5_IJST_SU_SV_SW_SX_SY_SZ_S10_S11_S12_S13_S14_S15_NSS_IJLi15EEEES1C_NSS_IJLi16EEEEEEENS5_IJS17_SX_SY_SZ_S18_S19_S1A_S12_S13_S15_S14_S1B_S1C_NSS_IJLi18EEEENSS_IJLi19ELi20EEEENSS_IJLi21EEEEEEENSS_IJLi18ELi19ELi20ELi21EEEElEENSB_INS5_IJSQ_SO_SO_SQ_SG_SG_S26_S28_EEENS5_IJST_SU_SV_SX_SW_SY_S18_SZ_EEENS5_IJS1I_SW_SX_S1J_S18_NSS_IJLi8EEEENSS_IJLi9ELi10EEEES12_EEENSS_IJLi8ELi9ELi10ELi11EEEElEENS5_IJNSB_INS5_IJSK_SO_SO_NSP_INS5_IJiS27_NS23_IiLi64EEEEEELb0EEES2S_EEENS5_IJST_SU_SV_SW_SX_EEENS5_IJS1I_SW_SX_NSS_IJLi5ELi6ELi7EEEENSS_IJLi8ELi9ELi10EEEEEEENSS_IJLi5ELi6ELi7ELi8ELi9ELi10EEEElEEEEES2Z_NS_31BlockToCTileMap_M00_N00_M01_N01ILi128ELi128ES1R_Lb0EEENS1_30ComputePtrOffsetOfStridedBatchILi1ELi1ELi1EvEELb1ELb1EEEvPKT0_S37_T1_PT2_T3_T4_T5_iT6_T7_T8_T9_T10_T11_
    .private_segment_fixed_size: 168
    .sgpr_count:     68
    .sgpr_spill_count: 0
    .symbol:         _ZN2ck16tensor_operation6device12_GLOBAL__N_137kernel_grouped_conv_fwd_dl_multiple_dINS_32GridwiseGemmDlMultipleD_km_kn_mnILi256EDF16_fNS_5TupleIJDF16_EEEDF16_NS0_12element_wise11PassThroughES8_NS7_7AddReluELNS_25InMemoryDataOperationEnumE0ENS_16TensorDescriptorINS5_IJNS_5EmbedINS5_IJiiiEEESD_Lb0EEENS_11PassThroughIiEENS_3PadIiiiLb0EEESG_SG_NSC_INS5_IJiiEEESJ_Lb0EEESG_NS_23Merge_v2_magic_divisionISJ_EESM_NS_8RightPadIiiLb0EEESO_NS_7UnMergeISJ_Lb0EEESG_EEENS5_IJNS_8SequenceIJLi0EEEENSS_IJLi1EEEENSS_IJLi2EEEENSS_IJLi3EEEENSS_IJLi4EEEENSS_IJLi5EEEENSS_IJLi6EEEENSS_IJLi7ELi9EEEENSS_IJLi8ELi10EEEENSS_IJLi11EEEENSS_IJLi12EEEENSS_IJLi14EEEENSS_IJLi13EEEEEEENS5_IJNSS_IJLi1ELi2ELi3EEEESX_SY_SZ_NSS_IJLi7EEEENSS_IJLi8ELi9EEEENSS_IJLi10EEEES12_S13_S15_S14_NSS_IJLi15ELi16EEEENSS_IJLi17EEEEEEENSS_IJLi15ELi17ELi16EEEElEENSB_INS5_IJSQ_SO_SO_SQ_SG_EEENS5_IJST_SU_SV_SX_SW_EEENS5_IJNSS_IJLi1ELi2EEEESW_SX_NSS_IJLi5ELi6EEEES18_EEENSS_IJLi5ELi7ELi6EEEElEENSB_INS5_IJSK_SO_SO_EEENS5_IJST_SU_SV_EEENS5_IJS1I_SW_SX_EEENSS_IJLi3ELi4EEEElEELi128ELi128ELi16ELi2ELi4ELi4ELi1ENSS_IJLi8ELi2EEEES1S_NSS_IJLi8ELi1ELi1ELi2EEEENSS_IJLi2ELi1ELi128ELi1EEEENSS_IJLi1ELi2ELi0ELi3EEEES1V_NSS_IJLi4ELi1ELi1ELi2EEEES1V_NSS_IJLi1ELi1ELi1ELi2EEEES1T_S1U_S1V_S1V_S1W_S1V_S1X_NSS_IJLi0ELi1ELi2ELi3ELi4ELi5EEEELi5ELi4EEEDF16_NS5_IJPKDF16_EEEDF16_S8_S8_S9_NSB_INS5_IJSE_SG_SI_SG_SG_SK_SG_SM_SM_SO_SO_SQ_SG_SG_NSP_INS5_IJiNS_17integral_constantIiLi128EEEEEELb0EEENSF_INS23_IiLi2EEEEEEEENS5_IJST_SU_SV_SW_SX_SY_SZ_S10_S11_S12_S13_S14_S15_NSS_IJLi15EEEES1C_NSS_IJLi16EEEEEEENS5_IJS17_SX_SY_SZ_S18_S19_S1A_S12_S13_S15_S14_S1B_S1C_NSS_IJLi18EEEENSS_IJLi19ELi20EEEENSS_IJLi21EEEEEEENSS_IJLi18ELi19ELi20ELi21EEEElEENSB_INS5_IJSQ_SO_SO_SQ_SG_SG_S26_S28_EEENS5_IJST_SU_SV_SX_SW_SY_S18_SZ_EEENS5_IJS1I_SW_SX_S1J_S18_NSS_IJLi8EEEENSS_IJLi9ELi10EEEES12_EEENSS_IJLi8ELi9ELi10ELi11EEEElEENS5_IJNSB_INS5_IJSK_SO_SO_NSP_INS5_IJiS27_NS23_IiLi64EEEEEELb0EEES2S_EEENS5_IJST_SU_SV_SW_SX_EEENS5_IJS1I_SW_SX_NSS_IJLi5ELi6ELi7EEEENSS_IJLi8ELi9ELi10EEEEEEENSS_IJLi5ELi6ELi7ELi8ELi9ELi10EEEElEEEEES2Z_NS_31BlockToCTileMap_M00_N00_M01_N01ILi128ELi128ES1R_Lb0EEENS1_30ComputePtrOffsetOfStridedBatchILi1ELi1ELi1EvEELb1ELb1EEEvPKT0_S37_T1_PT2_T3_T4_T5_iT6_T7_T8_T9_T10_T11_.kd
    .uniform_work_group_size: 1
    .uses_dynamic_stack: false
    .vgpr_count:     128
    .vgpr_spill_count: 54
    .wavefront_size: 64
  - .args:
      - .actual_access:  read_only
        .address_space:  global
        .offset:         0
        .size:           8
        .value_kind:     global_buffer
      - .actual_access:  read_only
        .address_space:  global
        .offset:         8
        .size:           8
        .value_kind:     global_buffer
      - .address_space:  global
        .offset:         16
        .size:           8
        .value_kind:     global_buffer
      - .actual_access:  write_only
        .address_space:  global
        .offset:         24
        .size:           8
        .value_kind:     global_buffer
      - .offset:         32
        .size:           1
        .value_kind:     by_value
      - .offset:         33
        .size:           1
        .value_kind:     by_value
      - .offset:         34
        .size:           1
        .value_kind:     by_value
      - .offset:         36
        .size:           4
        .value_kind:     by_value
      - .offset:         40
        .size:           200
        .value_kind:     by_value
      - .offset:         240
        .size:           96
        .value_kind:     by_value
      - .offset:         336
        .size:           80
        .value_kind:     by_value
      - .offset:         416
        .size:           80
        .value_kind:     by_value
      - .offset:         496
        .size:           112
        .value_kind:     by_value
      - .offset:         608
        .size:           40
        .value_kind:     by_value
      - .offset:         648
        .size:           4
        .value_kind:     hidden_block_count_x
      - .offset:         652
        .size:           4
        .value_kind:     hidden_block_count_y
      - .offset:         656
        .size:           4
        .value_kind:     hidden_block_count_z
      - .offset:         660
        .size:           2
        .value_kind:     hidden_group_size_x
      - .offset:         662
        .size:           2
        .value_kind:     hidden_group_size_y
      - .offset:         664
        .size:           2
        .value_kind:     hidden_group_size_z
      - .offset:         666
        .size:           2
        .value_kind:     hidden_remainder_x
      - .offset:         668
        .size:           2
        .value_kind:     hidden_remainder_y
      - .offset:         670
        .size:           2
        .value_kind:     hidden_remainder_z
      - .offset:         688
        .size:           8
        .value_kind:     hidden_global_offset_x
      - .offset:         696
        .size:           8
        .value_kind:     hidden_global_offset_y
      - .offset:         704
        .size:           8
        .value_kind:     hidden_global_offset_z
      - .offset:         712
        .size:           2
        .value_kind:     hidden_grid_dims
    .group_segment_fixed_size: 32768
    .kernarg_segment_align: 8
    .kernarg_segment_size: 904
    .language:       OpenCL C
    .language_version:
      - 2
      - 0
    .max_flat_workgroup_size: 256
    .name:           _ZN2ck16tensor_operation6device12_GLOBAL__N_137kernel_grouped_conv_fwd_dl_multiple_dINS_32GridwiseGemmDlMultipleD_km_kn_mnILi256EDF16_fNS_5TupleIJDF16_EEEDF16_NS0_12element_wise11PassThroughES8_NS7_7AddReluELNS_25InMemoryDataOperationEnumE0ENS_16TensorDescriptorINS5_IJNS_5EmbedINS5_IJiiiEEESD_Lb0EEENS_11PassThroughIiEENS_3PadIiiiLb0EEESG_SG_NSC_INS5_IJiiEEESJ_Lb0EEESG_NS_23Merge_v2_magic_divisionISJ_EESM_NS_8RightPadIiiLb0EEESO_NS_7UnMergeISJ_Lb0EEESG_EEENS5_IJNS_8SequenceIJLi0EEEENSS_IJLi1EEEENSS_IJLi2EEEENSS_IJLi3EEEENSS_IJLi4EEEENSS_IJLi5EEEENSS_IJLi6EEEENSS_IJLi7ELi9EEEENSS_IJLi8ELi10EEEENSS_IJLi11EEEENSS_IJLi12EEEENSS_IJLi14EEEENSS_IJLi13EEEEEEENS5_IJNSS_IJLi1ELi2ELi3EEEESX_SY_SZ_NSS_IJLi7EEEENSS_IJLi8ELi9EEEENSS_IJLi10EEEES12_S13_S15_S14_NSS_IJLi15ELi16EEEENSS_IJLi17EEEEEEENSS_IJLi15ELi17ELi16EEEElEENSB_INS5_IJSQ_SO_SO_SQ_SG_EEENS5_IJST_SU_SV_SX_SW_EEENS5_IJNSS_IJLi1ELi2EEEESW_SX_NSS_IJLi5ELi6EEEES18_EEENSS_IJLi5ELi7ELi6EEEElEENSB_INS5_IJSK_SO_SO_EEENS5_IJST_SU_SV_EEENS5_IJS1I_SW_SX_EEENSS_IJLi3ELi4EEEElEELi128ELi128ELi16ELi2ELi4ELi4ELi1ENSS_IJLi8ELi2EEEES1S_NSS_IJLi8ELi1ELi1ELi2EEEENSS_IJLi2ELi1ELi128ELi1EEEENSS_IJLi1ELi2ELi0ELi3EEEES1V_NSS_IJLi4ELi1ELi1ELi2EEEES1V_NSS_IJLi1ELi1ELi1ELi2EEEES1T_S1U_S1V_S1V_S1W_S1V_S1X_NSS_IJLi0ELi1ELi2ELi3ELi4ELi5EEEELi5ELi4EEEDF16_NS5_IJPKDF16_EEEDF16_S8_S8_S9_NSB_INS5_IJSE_SG_SI_SG_SG_SK_SG_SM_SM_SO_SO_SQ_SG_SG_NSP_INS5_IJiNS_17integral_constantIiLi128EEEEEELb0EEENSF_INS23_IiLi2EEEEEEEENS5_IJST_SU_SV_SW_SX_SY_SZ_S10_S11_S12_S13_S14_S15_NSS_IJLi15EEEES1C_NSS_IJLi16EEEEEEENS5_IJS17_SX_SY_SZ_S18_S19_S1A_S12_S13_S15_S14_S1B_S1C_NSS_IJLi18EEEENSS_IJLi19ELi20EEEENSS_IJLi21EEEEEEENSS_IJLi18ELi19ELi20ELi21EEEElEENSB_INS5_IJSQ_SO_SO_SQ_SG_SG_S26_S28_EEENS5_IJST_SU_SV_SX_SW_SY_S18_SZ_EEENS5_IJS1I_SW_SX_S1J_S18_NSS_IJLi8EEEENSS_IJLi9ELi10EEEES12_EEENSS_IJLi8ELi9ELi10ELi11EEEElEENS5_IJNSB_INS5_IJSK_SO_SO_NSP_INS5_IJiS27_NS23_IiLi64EEEEEELb0EEES2S_EEENS5_IJST_SU_SV_SW_SX_EEENS5_IJS1I_SW_SX_NSS_IJLi5ELi6ELi7EEEENSS_IJLi8ELi9ELi10EEEEEEENSS_IJLi5ELi6ELi7ELi8ELi9ELi10EEEElEEEEES2Z_NS_31BlockToCTileMap_M00_N00_M01_N01ILi128ELi128ES1R_Lb0EEENS1_30ComputePtrOffsetOfStridedBatchILi1ELi1ELi1EvEELb1ELb0EEEvPKT0_S37_T1_PT2_T3_T4_T5_iT6_T7_T8_T9_T10_T11_
    .private_segment_fixed_size: 140
    .sgpr_count:     68
    .sgpr_spill_count: 0
    .symbol:         _ZN2ck16tensor_operation6device12_GLOBAL__N_137kernel_grouped_conv_fwd_dl_multiple_dINS_32GridwiseGemmDlMultipleD_km_kn_mnILi256EDF16_fNS_5TupleIJDF16_EEEDF16_NS0_12element_wise11PassThroughES8_NS7_7AddReluELNS_25InMemoryDataOperationEnumE0ENS_16TensorDescriptorINS5_IJNS_5EmbedINS5_IJiiiEEESD_Lb0EEENS_11PassThroughIiEENS_3PadIiiiLb0EEESG_SG_NSC_INS5_IJiiEEESJ_Lb0EEESG_NS_23Merge_v2_magic_divisionISJ_EESM_NS_8RightPadIiiLb0EEESO_NS_7UnMergeISJ_Lb0EEESG_EEENS5_IJNS_8SequenceIJLi0EEEENSS_IJLi1EEEENSS_IJLi2EEEENSS_IJLi3EEEENSS_IJLi4EEEENSS_IJLi5EEEENSS_IJLi6EEEENSS_IJLi7ELi9EEEENSS_IJLi8ELi10EEEENSS_IJLi11EEEENSS_IJLi12EEEENSS_IJLi14EEEENSS_IJLi13EEEEEEENS5_IJNSS_IJLi1ELi2ELi3EEEESX_SY_SZ_NSS_IJLi7EEEENSS_IJLi8ELi9EEEENSS_IJLi10EEEES12_S13_S15_S14_NSS_IJLi15ELi16EEEENSS_IJLi17EEEEEEENSS_IJLi15ELi17ELi16EEEElEENSB_INS5_IJSQ_SO_SO_SQ_SG_EEENS5_IJST_SU_SV_SX_SW_EEENS5_IJNSS_IJLi1ELi2EEEESW_SX_NSS_IJLi5ELi6EEEES18_EEENSS_IJLi5ELi7ELi6EEEElEENSB_INS5_IJSK_SO_SO_EEENS5_IJST_SU_SV_EEENS5_IJS1I_SW_SX_EEENSS_IJLi3ELi4EEEElEELi128ELi128ELi16ELi2ELi4ELi4ELi1ENSS_IJLi8ELi2EEEES1S_NSS_IJLi8ELi1ELi1ELi2EEEENSS_IJLi2ELi1ELi128ELi1EEEENSS_IJLi1ELi2ELi0ELi3EEEES1V_NSS_IJLi4ELi1ELi1ELi2EEEES1V_NSS_IJLi1ELi1ELi1ELi2EEEES1T_S1U_S1V_S1V_S1W_S1V_S1X_NSS_IJLi0ELi1ELi2ELi3ELi4ELi5EEEELi5ELi4EEEDF16_NS5_IJPKDF16_EEEDF16_S8_S8_S9_NSB_INS5_IJSE_SG_SI_SG_SG_SK_SG_SM_SM_SO_SO_SQ_SG_SG_NSP_INS5_IJiNS_17integral_constantIiLi128EEEEEELb0EEENSF_INS23_IiLi2EEEEEEEENS5_IJST_SU_SV_SW_SX_SY_SZ_S10_S11_S12_S13_S14_S15_NSS_IJLi15EEEES1C_NSS_IJLi16EEEEEEENS5_IJS17_SX_SY_SZ_S18_S19_S1A_S12_S13_S15_S14_S1B_S1C_NSS_IJLi18EEEENSS_IJLi19ELi20EEEENSS_IJLi21EEEEEEENSS_IJLi18ELi19ELi20ELi21EEEElEENSB_INS5_IJSQ_SO_SO_SQ_SG_SG_S26_S28_EEENS5_IJST_SU_SV_SX_SW_SY_S18_SZ_EEENS5_IJS1I_SW_SX_S1J_S18_NSS_IJLi8EEEENSS_IJLi9ELi10EEEES12_EEENSS_IJLi8ELi9ELi10ELi11EEEElEENS5_IJNSB_INS5_IJSK_SO_SO_NSP_INS5_IJiS27_NS23_IiLi64EEEEEELb0EEES2S_EEENS5_IJST_SU_SV_SW_SX_EEENS5_IJS1I_SW_SX_NSS_IJLi5ELi6ELi7EEEENSS_IJLi8ELi9ELi10EEEEEEENSS_IJLi5ELi6ELi7ELi8ELi9ELi10EEEElEEEEES2Z_NS_31BlockToCTileMap_M00_N00_M01_N01ILi128ELi128ES1R_Lb0EEENS1_30ComputePtrOffsetOfStridedBatchILi1ELi1ELi1EvEELb1ELb0EEEvPKT0_S37_T1_PT2_T3_T4_T5_iT6_T7_T8_T9_T10_T11_.kd
    .uniform_work_group_size: 1
    .uses_dynamic_stack: false
    .vgpr_count:     128
    .vgpr_spill_count: 35
    .wavefront_size: 64
  - .args:
      - .actual_access:  read_only
        .address_space:  global
        .offset:         0
        .size:           8
        .value_kind:     global_buffer
      - .actual_access:  read_only
        .address_space:  global
        .offset:         8
        .size:           8
        .value_kind:     global_buffer
      - .address_space:  global
        .offset:         16
        .size:           8
        .value_kind:     global_buffer
      - .actual_access:  write_only
        .address_space:  global
        .offset:         24
        .size:           8
        .value_kind:     global_buffer
      - .offset:         32
        .size:           1
        .value_kind:     by_value
      - .offset:         33
        .size:           1
        .value_kind:     by_value
      - .offset:         34
        .size:           1
        .value_kind:     by_value
      - .offset:         36
        .size:           4
        .value_kind:     by_value
      - .offset:         40
        .size:           200
        .value_kind:     by_value
      - .offset:         240
        .size:           96
        .value_kind:     by_value
      - .offset:         336
        .size:           80
        .value_kind:     by_value
      - .offset:         416
        .size:           80
        .value_kind:     by_value
      - .offset:         496
        .size:           112
        .value_kind:     by_value
      - .offset:         608
        .size:           40
        .value_kind:     by_value
      - .offset:         648
        .size:           4
        .value_kind:     hidden_block_count_x
      - .offset:         652
        .size:           4
        .value_kind:     hidden_block_count_y
      - .offset:         656
        .size:           4
        .value_kind:     hidden_block_count_z
      - .offset:         660
        .size:           2
        .value_kind:     hidden_group_size_x
      - .offset:         662
        .size:           2
        .value_kind:     hidden_group_size_y
      - .offset:         664
        .size:           2
        .value_kind:     hidden_group_size_z
      - .offset:         666
        .size:           2
        .value_kind:     hidden_remainder_x
      - .offset:         668
        .size:           2
        .value_kind:     hidden_remainder_y
      - .offset:         670
        .size:           2
        .value_kind:     hidden_remainder_z
      - .offset:         688
        .size:           8
        .value_kind:     hidden_global_offset_x
      - .offset:         696
        .size:           8
        .value_kind:     hidden_global_offset_y
      - .offset:         704
        .size:           8
        .value_kind:     hidden_global_offset_z
      - .offset:         712
        .size:           2
        .value_kind:     hidden_grid_dims
    .group_segment_fixed_size: 32768
    .kernarg_segment_align: 8
    .kernarg_segment_size: 904
    .language:       OpenCL C
    .language_version:
      - 2
      - 0
    .max_flat_workgroup_size: 256
    .name:           _ZN2ck16tensor_operation6device12_GLOBAL__N_137kernel_grouped_conv_fwd_dl_multiple_dINS_32GridwiseGemmDlMultipleD_km_kn_mnILi256EDF16_fNS_5TupleIJDF16_EEEDF16_NS0_12element_wise11PassThroughES8_NS7_7AddReluELNS_25InMemoryDataOperationEnumE0ENS_16TensorDescriptorINS5_IJNS_5EmbedINS5_IJiiiEEESD_Lb0EEENS_11PassThroughIiEENS_3PadIiiiLb0EEESG_SG_NSC_INS5_IJiiEEESJ_Lb0EEESG_NS_23Merge_v2_magic_divisionISJ_EESM_NS_8RightPadIiiLb0EEESO_NS_7UnMergeISJ_Lb0EEESG_EEENS5_IJNS_8SequenceIJLi0EEEENSS_IJLi1EEEENSS_IJLi2EEEENSS_IJLi3EEEENSS_IJLi4EEEENSS_IJLi5EEEENSS_IJLi6EEEENSS_IJLi7ELi9EEEENSS_IJLi8ELi10EEEENSS_IJLi11EEEENSS_IJLi12EEEENSS_IJLi14EEEENSS_IJLi13EEEEEEENS5_IJNSS_IJLi1ELi2ELi3EEEESX_SY_SZ_NSS_IJLi7EEEENSS_IJLi8ELi9EEEENSS_IJLi10EEEES12_S13_S15_S14_NSS_IJLi15ELi16EEEENSS_IJLi17EEEEEEENSS_IJLi15ELi17ELi16EEEElEENSB_INS5_IJSQ_SO_SO_SQ_SG_EEENS5_IJST_SU_SV_SX_SW_EEENS5_IJNSS_IJLi1ELi2EEEESW_SX_NSS_IJLi5ELi6EEEES18_EEENSS_IJLi5ELi7ELi6EEEElEENSB_INS5_IJSK_SO_SO_EEENS5_IJST_SU_SV_EEENS5_IJS1I_SW_SX_EEENSS_IJLi3ELi4EEEElEELi128ELi128ELi16ELi2ELi4ELi4ELi1ENSS_IJLi8ELi2EEEES1S_NSS_IJLi8ELi1ELi1ELi2EEEENSS_IJLi2ELi1ELi128ELi1EEEENSS_IJLi1ELi2ELi0ELi3EEEES1V_NSS_IJLi4ELi1ELi1ELi2EEEES1V_NSS_IJLi1ELi1ELi1ELi2EEEES1T_S1U_S1V_S1V_S1W_S1V_S1X_NSS_IJLi0ELi1ELi2ELi3ELi4ELi5EEEELi5ELi4EEEDF16_NS5_IJPKDF16_EEEDF16_S8_S8_S9_NSB_INS5_IJSE_SG_SI_SG_SG_SK_SG_SM_SM_SO_SO_SQ_SG_SG_NSP_INS5_IJiNS_17integral_constantIiLi128EEEEEELb0EEENSF_INS23_IiLi2EEEEEEEENS5_IJST_SU_SV_SW_SX_SY_SZ_S10_S11_S12_S13_S14_S15_NSS_IJLi15EEEES1C_NSS_IJLi16EEEEEEENS5_IJS17_SX_SY_SZ_S18_S19_S1A_S12_S13_S15_S14_S1B_S1C_NSS_IJLi18EEEENSS_IJLi19ELi20EEEENSS_IJLi21EEEEEEENSS_IJLi18ELi19ELi20ELi21EEEElEENSB_INS5_IJSQ_SO_SO_SQ_SG_SG_S26_S28_EEENS5_IJST_SU_SV_SX_SW_SY_S18_SZ_EEENS5_IJS1I_SW_SX_S1J_S18_NSS_IJLi8EEEENSS_IJLi9ELi10EEEES12_EEENSS_IJLi8ELi9ELi10ELi11EEEElEENS5_IJNSB_INS5_IJSK_SO_SO_NSP_INS5_IJiS27_NS23_IiLi64EEEEEELb0EEES2S_EEENS5_IJST_SU_SV_SW_SX_EEENS5_IJS1I_SW_SX_NSS_IJLi5ELi6ELi7EEEENSS_IJLi8ELi9ELi10EEEEEEENSS_IJLi5ELi6ELi7ELi8ELi9ELi10EEEElEEEEES2Z_NS_31BlockToCTileMap_M00_N00_M01_N01ILi128ELi128ES1R_Lb0EEENS1_30ComputePtrOffsetOfStridedBatchILi1ELi1ELi1EvEELb0ELb1EEEvPKT0_S37_T1_PT2_T3_T4_T5_iT6_T7_T8_T9_T10_T11_
    .private_segment_fixed_size: 0
    .sgpr_count:     64
    .sgpr_spill_count: 0
    .symbol:         _ZN2ck16tensor_operation6device12_GLOBAL__N_137kernel_grouped_conv_fwd_dl_multiple_dINS_32GridwiseGemmDlMultipleD_km_kn_mnILi256EDF16_fNS_5TupleIJDF16_EEEDF16_NS0_12element_wise11PassThroughES8_NS7_7AddReluELNS_25InMemoryDataOperationEnumE0ENS_16TensorDescriptorINS5_IJNS_5EmbedINS5_IJiiiEEESD_Lb0EEENS_11PassThroughIiEENS_3PadIiiiLb0EEESG_SG_NSC_INS5_IJiiEEESJ_Lb0EEESG_NS_23Merge_v2_magic_divisionISJ_EESM_NS_8RightPadIiiLb0EEESO_NS_7UnMergeISJ_Lb0EEESG_EEENS5_IJNS_8SequenceIJLi0EEEENSS_IJLi1EEEENSS_IJLi2EEEENSS_IJLi3EEEENSS_IJLi4EEEENSS_IJLi5EEEENSS_IJLi6EEEENSS_IJLi7ELi9EEEENSS_IJLi8ELi10EEEENSS_IJLi11EEEENSS_IJLi12EEEENSS_IJLi14EEEENSS_IJLi13EEEEEEENS5_IJNSS_IJLi1ELi2ELi3EEEESX_SY_SZ_NSS_IJLi7EEEENSS_IJLi8ELi9EEEENSS_IJLi10EEEES12_S13_S15_S14_NSS_IJLi15ELi16EEEENSS_IJLi17EEEEEEENSS_IJLi15ELi17ELi16EEEElEENSB_INS5_IJSQ_SO_SO_SQ_SG_EEENS5_IJST_SU_SV_SX_SW_EEENS5_IJNSS_IJLi1ELi2EEEESW_SX_NSS_IJLi5ELi6EEEES18_EEENSS_IJLi5ELi7ELi6EEEElEENSB_INS5_IJSK_SO_SO_EEENS5_IJST_SU_SV_EEENS5_IJS1I_SW_SX_EEENSS_IJLi3ELi4EEEElEELi128ELi128ELi16ELi2ELi4ELi4ELi1ENSS_IJLi8ELi2EEEES1S_NSS_IJLi8ELi1ELi1ELi2EEEENSS_IJLi2ELi1ELi128ELi1EEEENSS_IJLi1ELi2ELi0ELi3EEEES1V_NSS_IJLi4ELi1ELi1ELi2EEEES1V_NSS_IJLi1ELi1ELi1ELi2EEEES1T_S1U_S1V_S1V_S1W_S1V_S1X_NSS_IJLi0ELi1ELi2ELi3ELi4ELi5EEEELi5ELi4EEEDF16_NS5_IJPKDF16_EEEDF16_S8_S8_S9_NSB_INS5_IJSE_SG_SI_SG_SG_SK_SG_SM_SM_SO_SO_SQ_SG_SG_NSP_INS5_IJiNS_17integral_constantIiLi128EEEEEELb0EEENSF_INS23_IiLi2EEEEEEEENS5_IJST_SU_SV_SW_SX_SY_SZ_S10_S11_S12_S13_S14_S15_NSS_IJLi15EEEES1C_NSS_IJLi16EEEEEEENS5_IJS17_SX_SY_SZ_S18_S19_S1A_S12_S13_S15_S14_S1B_S1C_NSS_IJLi18EEEENSS_IJLi19ELi20EEEENSS_IJLi21EEEEEEENSS_IJLi18ELi19ELi20ELi21EEEElEENSB_INS5_IJSQ_SO_SO_SQ_SG_SG_S26_S28_EEENS5_IJST_SU_SV_SX_SW_SY_S18_SZ_EEENS5_IJS1I_SW_SX_S1J_S18_NSS_IJLi8EEEENSS_IJLi9ELi10EEEES12_EEENSS_IJLi8ELi9ELi10ELi11EEEElEENS5_IJNSB_INS5_IJSK_SO_SO_NSP_INS5_IJiS27_NS23_IiLi64EEEEEELb0EEES2S_EEENS5_IJST_SU_SV_SW_SX_EEENS5_IJS1I_SW_SX_NSS_IJLi5ELi6ELi7EEEENSS_IJLi8ELi9ELi10EEEEEEENSS_IJLi5ELi6ELi7ELi8ELi9ELi10EEEElEEEEES2Z_NS_31BlockToCTileMap_M00_N00_M01_N01ILi128ELi128ES1R_Lb0EEENS1_30ComputePtrOffsetOfStridedBatchILi1ELi1ELi1EvEELb0ELb1EEEvPKT0_S37_T1_PT2_T3_T4_T5_iT6_T7_T8_T9_T10_T11_.kd
    .uniform_work_group_size: 1
    .uses_dynamic_stack: false
    .vgpr_count:     125
    .vgpr_spill_count: 0
    .wavefront_size: 64
  - .args:
      - .actual_access:  read_only
        .address_space:  global
        .offset:         0
        .size:           8
        .value_kind:     global_buffer
      - .actual_access:  read_only
        .address_space:  global
        .offset:         8
        .size:           8
        .value_kind:     global_buffer
      - .address_space:  global
        .offset:         16
        .size:           8
        .value_kind:     global_buffer
      - .actual_access:  write_only
        .address_space:  global
        .offset:         24
        .size:           8
        .value_kind:     global_buffer
      - .offset:         32
        .size:           1
        .value_kind:     by_value
      - .offset:         33
        .size:           1
        .value_kind:     by_value
      - .offset:         34
        .size:           1
        .value_kind:     by_value
      - .offset:         36
        .size:           4
        .value_kind:     by_value
      - .offset:         40
        .size:           200
        .value_kind:     by_value
      - .offset:         240
        .size:           96
        .value_kind:     by_value
      - .offset:         336
        .size:           80
        .value_kind:     by_value
      - .offset:         416
        .size:           80
        .value_kind:     by_value
      - .offset:         496
        .size:           112
        .value_kind:     by_value
      - .offset:         608
        .size:           40
        .value_kind:     by_value
      - .offset:         648
        .size:           4
        .value_kind:     hidden_block_count_x
      - .offset:         652
        .size:           4
        .value_kind:     hidden_block_count_y
      - .offset:         656
        .size:           4
        .value_kind:     hidden_block_count_z
      - .offset:         660
        .size:           2
        .value_kind:     hidden_group_size_x
      - .offset:         662
        .size:           2
        .value_kind:     hidden_group_size_y
      - .offset:         664
        .size:           2
        .value_kind:     hidden_group_size_z
      - .offset:         666
        .size:           2
        .value_kind:     hidden_remainder_x
      - .offset:         668
        .size:           2
        .value_kind:     hidden_remainder_y
      - .offset:         670
        .size:           2
        .value_kind:     hidden_remainder_z
      - .offset:         688
        .size:           8
        .value_kind:     hidden_global_offset_x
      - .offset:         696
        .size:           8
        .value_kind:     hidden_global_offset_y
      - .offset:         704
        .size:           8
        .value_kind:     hidden_global_offset_z
      - .offset:         712
        .size:           2
        .value_kind:     hidden_grid_dims
    .group_segment_fixed_size: 32768
    .kernarg_segment_align: 8
    .kernarg_segment_size: 904
    .language:       OpenCL C
    .language_version:
      - 2
      - 0
    .max_flat_workgroup_size: 256
    .name:           _ZN2ck16tensor_operation6device12_GLOBAL__N_137kernel_grouped_conv_fwd_dl_multiple_dINS_32GridwiseGemmDlMultipleD_km_kn_mnILi256EDF16_fNS_5TupleIJDF16_EEEDF16_NS0_12element_wise11PassThroughES8_NS7_7AddReluELNS_25InMemoryDataOperationEnumE0ENS_16TensorDescriptorINS5_IJNS_5EmbedINS5_IJiiiEEESD_Lb0EEENS_11PassThroughIiEENS_3PadIiiiLb0EEESG_SG_NSC_INS5_IJiiEEESJ_Lb0EEESG_NS_23Merge_v2_magic_divisionISJ_EESM_NS_8RightPadIiiLb0EEESO_NS_7UnMergeISJ_Lb0EEESG_EEENS5_IJNS_8SequenceIJLi0EEEENSS_IJLi1EEEENSS_IJLi2EEEENSS_IJLi3EEEENSS_IJLi4EEEENSS_IJLi5EEEENSS_IJLi6EEEENSS_IJLi7ELi9EEEENSS_IJLi8ELi10EEEENSS_IJLi11EEEENSS_IJLi12EEEENSS_IJLi14EEEENSS_IJLi13EEEEEEENS5_IJNSS_IJLi1ELi2ELi3EEEESX_SY_SZ_NSS_IJLi7EEEENSS_IJLi8ELi9EEEENSS_IJLi10EEEES12_S13_S15_S14_NSS_IJLi15ELi16EEEENSS_IJLi17EEEEEEENSS_IJLi15ELi17ELi16EEEElEENSB_INS5_IJSQ_SO_SO_SQ_SG_EEENS5_IJST_SU_SV_SX_SW_EEENS5_IJNSS_IJLi1ELi2EEEESW_SX_NSS_IJLi5ELi6EEEES18_EEENSS_IJLi5ELi7ELi6EEEElEENSB_INS5_IJSK_SO_SO_EEENS5_IJST_SU_SV_EEENS5_IJS1I_SW_SX_EEENSS_IJLi3ELi4EEEElEELi128ELi128ELi16ELi2ELi4ELi4ELi1ENSS_IJLi8ELi2EEEES1S_NSS_IJLi8ELi1ELi1ELi2EEEENSS_IJLi2ELi1ELi128ELi1EEEENSS_IJLi1ELi2ELi0ELi3EEEES1V_NSS_IJLi4ELi1ELi1ELi2EEEES1V_NSS_IJLi1ELi1ELi1ELi2EEEES1T_S1U_S1V_S1V_S1W_S1V_S1X_NSS_IJLi0ELi1ELi2ELi3ELi4ELi5EEEELi5ELi4EEEDF16_NS5_IJPKDF16_EEEDF16_S8_S8_S9_NSB_INS5_IJSE_SG_SI_SG_SG_SK_SG_SM_SM_SO_SO_SQ_SG_SG_NSP_INS5_IJiNS_17integral_constantIiLi128EEEEEELb0EEENSF_INS23_IiLi2EEEEEEEENS5_IJST_SU_SV_SW_SX_SY_SZ_S10_S11_S12_S13_S14_S15_NSS_IJLi15EEEES1C_NSS_IJLi16EEEEEEENS5_IJS17_SX_SY_SZ_S18_S19_S1A_S12_S13_S15_S14_S1B_S1C_NSS_IJLi18EEEENSS_IJLi19ELi20EEEENSS_IJLi21EEEEEEENSS_IJLi18ELi19ELi20ELi21EEEElEENSB_INS5_IJSQ_SO_SO_SQ_SG_SG_S26_S28_EEENS5_IJST_SU_SV_SX_SW_SY_S18_SZ_EEENS5_IJS1I_SW_SX_S1J_S18_NSS_IJLi8EEEENSS_IJLi9ELi10EEEES12_EEENSS_IJLi8ELi9ELi10ELi11EEEElEENS5_IJNSB_INS5_IJSK_SO_SO_NSP_INS5_IJiS27_NS23_IiLi64EEEEEELb0EEES2S_EEENS5_IJST_SU_SV_SW_SX_EEENS5_IJS1I_SW_SX_NSS_IJLi5ELi6ELi7EEEENSS_IJLi8ELi9ELi10EEEEEEENSS_IJLi5ELi6ELi7ELi8ELi9ELi10EEEElEEEEES2Z_NS_31BlockToCTileMap_M00_N00_M01_N01ILi128ELi128ES1R_Lb0EEENS1_30ComputePtrOffsetOfStridedBatchILi1ELi1ELi1EvEELb0ELb0EEEvPKT0_S37_T1_PT2_T3_T4_T5_iT6_T7_T8_T9_T10_T11_
    .private_segment_fixed_size: 0
    .sgpr_count:     55
    .sgpr_spill_count: 0
    .symbol:         _ZN2ck16tensor_operation6device12_GLOBAL__N_137kernel_grouped_conv_fwd_dl_multiple_dINS_32GridwiseGemmDlMultipleD_km_kn_mnILi256EDF16_fNS_5TupleIJDF16_EEEDF16_NS0_12element_wise11PassThroughES8_NS7_7AddReluELNS_25InMemoryDataOperationEnumE0ENS_16TensorDescriptorINS5_IJNS_5EmbedINS5_IJiiiEEESD_Lb0EEENS_11PassThroughIiEENS_3PadIiiiLb0EEESG_SG_NSC_INS5_IJiiEEESJ_Lb0EEESG_NS_23Merge_v2_magic_divisionISJ_EESM_NS_8RightPadIiiLb0EEESO_NS_7UnMergeISJ_Lb0EEESG_EEENS5_IJNS_8SequenceIJLi0EEEENSS_IJLi1EEEENSS_IJLi2EEEENSS_IJLi3EEEENSS_IJLi4EEEENSS_IJLi5EEEENSS_IJLi6EEEENSS_IJLi7ELi9EEEENSS_IJLi8ELi10EEEENSS_IJLi11EEEENSS_IJLi12EEEENSS_IJLi14EEEENSS_IJLi13EEEEEEENS5_IJNSS_IJLi1ELi2ELi3EEEESX_SY_SZ_NSS_IJLi7EEEENSS_IJLi8ELi9EEEENSS_IJLi10EEEES12_S13_S15_S14_NSS_IJLi15ELi16EEEENSS_IJLi17EEEEEEENSS_IJLi15ELi17ELi16EEEElEENSB_INS5_IJSQ_SO_SO_SQ_SG_EEENS5_IJST_SU_SV_SX_SW_EEENS5_IJNSS_IJLi1ELi2EEEESW_SX_NSS_IJLi5ELi6EEEES18_EEENSS_IJLi5ELi7ELi6EEEElEENSB_INS5_IJSK_SO_SO_EEENS5_IJST_SU_SV_EEENS5_IJS1I_SW_SX_EEENSS_IJLi3ELi4EEEElEELi128ELi128ELi16ELi2ELi4ELi4ELi1ENSS_IJLi8ELi2EEEES1S_NSS_IJLi8ELi1ELi1ELi2EEEENSS_IJLi2ELi1ELi128ELi1EEEENSS_IJLi1ELi2ELi0ELi3EEEES1V_NSS_IJLi4ELi1ELi1ELi2EEEES1V_NSS_IJLi1ELi1ELi1ELi2EEEES1T_S1U_S1V_S1V_S1W_S1V_S1X_NSS_IJLi0ELi1ELi2ELi3ELi4ELi5EEEELi5ELi4EEEDF16_NS5_IJPKDF16_EEEDF16_S8_S8_S9_NSB_INS5_IJSE_SG_SI_SG_SG_SK_SG_SM_SM_SO_SO_SQ_SG_SG_NSP_INS5_IJiNS_17integral_constantIiLi128EEEEEELb0EEENSF_INS23_IiLi2EEEEEEEENS5_IJST_SU_SV_SW_SX_SY_SZ_S10_S11_S12_S13_S14_S15_NSS_IJLi15EEEES1C_NSS_IJLi16EEEEEEENS5_IJS17_SX_SY_SZ_S18_S19_S1A_S12_S13_S15_S14_S1B_S1C_NSS_IJLi18EEEENSS_IJLi19ELi20EEEENSS_IJLi21EEEEEEENSS_IJLi18ELi19ELi20ELi21EEEElEENSB_INS5_IJSQ_SO_SO_SQ_SG_SG_S26_S28_EEENS5_IJST_SU_SV_SX_SW_SY_S18_SZ_EEENS5_IJS1I_SW_SX_S1J_S18_NSS_IJLi8EEEENSS_IJLi9ELi10EEEES12_EEENSS_IJLi8ELi9ELi10ELi11EEEElEENS5_IJNSB_INS5_IJSK_SO_SO_NSP_INS5_IJiS27_NS23_IiLi64EEEEEELb0EEES2S_EEENS5_IJST_SU_SV_SW_SX_EEENS5_IJS1I_SW_SX_NSS_IJLi5ELi6ELi7EEEENSS_IJLi8ELi9ELi10EEEEEEENSS_IJLi5ELi6ELi7ELi8ELi9ELi10EEEElEEEEES2Z_NS_31BlockToCTileMap_M00_N00_M01_N01ILi128ELi128ES1R_Lb0EEENS1_30ComputePtrOffsetOfStridedBatchILi1ELi1ELi1EvEELb0ELb0EEEvPKT0_S37_T1_PT2_T3_T4_T5_iT6_T7_T8_T9_T10_T11_.kd
    .uniform_work_group_size: 1
    .uses_dynamic_stack: false
    .vgpr_count:     120
    .vgpr_spill_count: 0
    .wavefront_size: 64
  - .args:
      - .actual_access:  read_only
        .address_space:  global
        .offset:         0
        .size:           8
        .value_kind:     global_buffer
      - .actual_access:  read_only
        .address_space:  global
        .offset:         8
        .size:           8
        .value_kind:     global_buffer
      - .address_space:  global
        .offset:         16
        .size:           8
        .value_kind:     global_buffer
      - .actual_access:  write_only
        .address_space:  global
        .offset:         24
        .size:           8
        .value_kind:     global_buffer
      - .offset:         32
        .size:           1
        .value_kind:     by_value
      - .offset:         33
        .size:           1
        .value_kind:     by_value
      - .offset:         34
        .size:           1
        .value_kind:     by_value
      - .offset:         36
        .size:           4
        .value_kind:     by_value
      - .offset:         40
        .size:           264
        .value_kind:     by_value
      - .offset:         304
        .size:           96
        .value_kind:     by_value
      - .offset:         400
        .size:           80
        .value_kind:     by_value
      - .offset:         480
        .size:           80
        .value_kind:     by_value
      - .offset:         560
        .size:           112
        .value_kind:     by_value
      - .offset:         672
        .size:           40
        .value_kind:     by_value
      - .offset:         712
        .size:           4
        .value_kind:     hidden_block_count_x
      - .offset:         716
        .size:           4
        .value_kind:     hidden_block_count_y
      - .offset:         720
        .size:           4
        .value_kind:     hidden_block_count_z
      - .offset:         724
        .size:           2
        .value_kind:     hidden_group_size_x
      - .offset:         726
        .size:           2
        .value_kind:     hidden_group_size_y
      - .offset:         728
        .size:           2
        .value_kind:     hidden_group_size_z
      - .offset:         730
        .size:           2
        .value_kind:     hidden_remainder_x
      - .offset:         732
        .size:           2
        .value_kind:     hidden_remainder_y
      - .offset:         734
        .size:           2
        .value_kind:     hidden_remainder_z
      - .offset:         752
        .size:           8
        .value_kind:     hidden_global_offset_x
      - .offset:         760
        .size:           8
        .value_kind:     hidden_global_offset_y
      - .offset:         768
        .size:           8
        .value_kind:     hidden_global_offset_z
      - .offset:         776
        .size:           2
        .value_kind:     hidden_grid_dims
    .group_segment_fixed_size: 32768
    .kernarg_segment_align: 8
    .kernarg_segment_size: 968
    .language:       OpenCL C
    .language_version:
      - 2
      - 0
    .max_flat_workgroup_size: 256
    .name:           _ZN2ck16tensor_operation6device12_GLOBAL__N_137kernel_grouped_conv_fwd_dl_multiple_dINS_32GridwiseGemmDlMultipleD_km_kn_mnILi256EDF16_fNS_5TupleIJDF16_EEEDF16_NS0_12element_wise11PassThroughES8_NS7_7AddReluELNS_25InMemoryDataOperationEnumE0ENS_16TensorDescriptorINS5_IJNS_5EmbedINS5_IJiiiiEEESD_Lb0EEENS_11PassThroughIiEENS_3PadIiiiLb0EEESI_SG_SG_NSC_INS5_IJiiEEESJ_Lb0EEESK_SG_NS_23Merge_v2_magic_divisionINS5_IJiiiEEEEESN_NS_8RightPadIiiLb0EEESP_NS_7UnMergeISJ_Lb0EEESG_EEENS5_IJNS_8SequenceIJLi0EEEENST_IJLi1EEEENST_IJLi2EEEENST_IJLi3EEEENST_IJLi4EEEENST_IJLi5EEEENST_IJLi6EEEENST_IJLi7EEEENST_IJLi8EEEENST_IJLi9ELi11ELi13EEEENST_IJLi10ELi12ELi14EEEENST_IJLi15EEEENST_IJLi16EEEENST_IJLi18EEEENST_IJLi17EEEEEEENS5_IJNST_IJLi1ELi2ELi3ELi4EEEESZ_S10_S11_S12_NST_IJLi9EEEENST_IJLi10ELi11EEEENST_IJLi12ELi13EEEENST_IJLi14EEEES15_S16_S18_S17_NST_IJLi19ELi20EEEENST_IJLi21EEEEEEENST_IJLi19ELi21ELi20EEEElEENSB_INS5_IJSR_SP_SP_SR_SG_EEENS5_IJSU_SV_SW_SY_SX_EEENS5_IJNST_IJLi1ELi2EEEESX_SY_NST_IJLi5ELi6EEEES11_EEENST_IJLi5ELi7ELi6EEEElEENSB_INS5_IJSK_SP_SP_EEENS5_IJSU_SV_SW_EEENS5_IJS1M_SX_SY_EEENST_IJLi3ELi4EEEElEELi128ELi128ELi16ELi2ELi4ELi4ELi1ENST_IJLi8ELi2EEEES1W_NST_IJLi8ELi1ELi1ELi2EEEENST_IJLi2ELi1ELi128ELi1EEEENST_IJLi1ELi2ELi0ELi3EEEES1Z_NST_IJLi4ELi1ELi1ELi2EEEES1Z_NST_IJLi1ELi1ELi1ELi2EEEES1X_S1Y_S1Z_S1Z_S20_S1Z_S21_NST_IJLi0ELi1ELi2ELi3ELi4ELi5EEEELi5ELi4EEEDF16_NS5_IJPKDF16_EEEDF16_S8_S8_S9_NSB_INS5_IJSE_SG_SI_SI_SG_SG_SK_SK_SG_SN_SN_SP_SP_SR_SG_SG_NSQ_INS5_IJiNS_17integral_constantIiLi128EEEEEELb0EEENSF_INS27_IiLi2EEEEEEEENS5_IJSU_SV_SW_SX_SY_SZ_S10_S11_S12_S13_S14_S15_S16_S17_S18_NST_IJLi19EEEES1G_NST_IJLi20EEEEEEENS5_IJS1A_SZ_S10_S11_S12_S1B_S1C_S1D_S1E_S15_S16_S18_S17_S1F_S1G_NST_IJLi22EEEENST_IJLi23ELi24EEEENST_IJLi25EEEEEEENST_IJLi22ELi23ELi24ELi25EEEElEENSB_INS5_IJSR_SP_SP_SR_SG_SG_S2A_S2C_EEENS5_IJSU_SV_SW_SY_SX_SZ_S11_S10_EEENS5_IJS1M_SX_SY_S1N_S11_S12_NST_IJLi9ELi10EEEENST_IJLi11EEEEEEENST_IJLi8ELi9ELi10ELi11EEEElEENS5_IJNSB_INS5_IJSK_SP_SP_NSQ_INS5_IJiS2B_NS27_IiLi64EEEEEELb0EEES2W_EEENS5_IJSU_SV_SW_SX_SY_EEENS5_IJS1M_SX_SY_NST_IJLi5ELi6ELi7EEEENST_IJLi8ELi9ELi10EEEEEEENST_IJLi5ELi6ELi7ELi8ELi9ELi10EEEElEEEEES33_NS_31BlockToCTileMap_M00_N00_M01_N01ILi128ELi128ES1V_Lb0EEENS1_30ComputePtrOffsetOfStridedBatchILi1ELi1ELi1EvEELb1ELb1EEEvPKT0_S3B_T1_PT2_T3_T4_T5_iT6_T7_T8_T9_T10_T11_
    .private_segment_fixed_size: 164
    .sgpr_count:     84
    .sgpr_spill_count: 0
    .symbol:         _ZN2ck16tensor_operation6device12_GLOBAL__N_137kernel_grouped_conv_fwd_dl_multiple_dINS_32GridwiseGemmDlMultipleD_km_kn_mnILi256EDF16_fNS_5TupleIJDF16_EEEDF16_NS0_12element_wise11PassThroughES8_NS7_7AddReluELNS_25InMemoryDataOperationEnumE0ENS_16TensorDescriptorINS5_IJNS_5EmbedINS5_IJiiiiEEESD_Lb0EEENS_11PassThroughIiEENS_3PadIiiiLb0EEESI_SG_SG_NSC_INS5_IJiiEEESJ_Lb0EEESK_SG_NS_23Merge_v2_magic_divisionINS5_IJiiiEEEEESN_NS_8RightPadIiiLb0EEESP_NS_7UnMergeISJ_Lb0EEESG_EEENS5_IJNS_8SequenceIJLi0EEEENST_IJLi1EEEENST_IJLi2EEEENST_IJLi3EEEENST_IJLi4EEEENST_IJLi5EEEENST_IJLi6EEEENST_IJLi7EEEENST_IJLi8EEEENST_IJLi9ELi11ELi13EEEENST_IJLi10ELi12ELi14EEEENST_IJLi15EEEENST_IJLi16EEEENST_IJLi18EEEENST_IJLi17EEEEEEENS5_IJNST_IJLi1ELi2ELi3ELi4EEEESZ_S10_S11_S12_NST_IJLi9EEEENST_IJLi10ELi11EEEENST_IJLi12ELi13EEEENST_IJLi14EEEES15_S16_S18_S17_NST_IJLi19ELi20EEEENST_IJLi21EEEEEEENST_IJLi19ELi21ELi20EEEElEENSB_INS5_IJSR_SP_SP_SR_SG_EEENS5_IJSU_SV_SW_SY_SX_EEENS5_IJNST_IJLi1ELi2EEEESX_SY_NST_IJLi5ELi6EEEES11_EEENST_IJLi5ELi7ELi6EEEElEENSB_INS5_IJSK_SP_SP_EEENS5_IJSU_SV_SW_EEENS5_IJS1M_SX_SY_EEENST_IJLi3ELi4EEEElEELi128ELi128ELi16ELi2ELi4ELi4ELi1ENST_IJLi8ELi2EEEES1W_NST_IJLi8ELi1ELi1ELi2EEEENST_IJLi2ELi1ELi128ELi1EEEENST_IJLi1ELi2ELi0ELi3EEEES1Z_NST_IJLi4ELi1ELi1ELi2EEEES1Z_NST_IJLi1ELi1ELi1ELi2EEEES1X_S1Y_S1Z_S1Z_S20_S1Z_S21_NST_IJLi0ELi1ELi2ELi3ELi4ELi5EEEELi5ELi4EEEDF16_NS5_IJPKDF16_EEEDF16_S8_S8_S9_NSB_INS5_IJSE_SG_SI_SI_SG_SG_SK_SK_SG_SN_SN_SP_SP_SR_SG_SG_NSQ_INS5_IJiNS_17integral_constantIiLi128EEEEEELb0EEENSF_INS27_IiLi2EEEEEEEENS5_IJSU_SV_SW_SX_SY_SZ_S10_S11_S12_S13_S14_S15_S16_S17_S18_NST_IJLi19EEEES1G_NST_IJLi20EEEEEEENS5_IJS1A_SZ_S10_S11_S12_S1B_S1C_S1D_S1E_S15_S16_S18_S17_S1F_S1G_NST_IJLi22EEEENST_IJLi23ELi24EEEENST_IJLi25EEEEEEENST_IJLi22ELi23ELi24ELi25EEEElEENSB_INS5_IJSR_SP_SP_SR_SG_SG_S2A_S2C_EEENS5_IJSU_SV_SW_SY_SX_SZ_S11_S10_EEENS5_IJS1M_SX_SY_S1N_S11_S12_NST_IJLi9ELi10EEEENST_IJLi11EEEEEEENST_IJLi8ELi9ELi10ELi11EEEElEENS5_IJNSB_INS5_IJSK_SP_SP_NSQ_INS5_IJiS2B_NS27_IiLi64EEEEEELb0EEES2W_EEENS5_IJSU_SV_SW_SX_SY_EEENS5_IJS1M_SX_SY_NST_IJLi5ELi6ELi7EEEENST_IJLi8ELi9ELi10EEEEEEENST_IJLi5ELi6ELi7ELi8ELi9ELi10EEEElEEEEES33_NS_31BlockToCTileMap_M00_N00_M01_N01ILi128ELi128ES1V_Lb0EEENS1_30ComputePtrOffsetOfStridedBatchILi1ELi1ELi1EvEELb1ELb1EEEvPKT0_S3B_T1_PT2_T3_T4_T5_iT6_T7_T8_T9_T10_T11_.kd
    .uniform_work_group_size: 1
    .uses_dynamic_stack: false
    .vgpr_count:     128
    .vgpr_spill_count: 49
    .wavefront_size: 64
  - .args:
      - .actual_access:  read_only
        .address_space:  global
        .offset:         0
        .size:           8
        .value_kind:     global_buffer
      - .actual_access:  read_only
        .address_space:  global
        .offset:         8
        .size:           8
        .value_kind:     global_buffer
      - .address_space:  global
        .offset:         16
        .size:           8
        .value_kind:     global_buffer
      - .actual_access:  write_only
        .address_space:  global
        .offset:         24
        .size:           8
        .value_kind:     global_buffer
      - .offset:         32
        .size:           1
        .value_kind:     by_value
      - .offset:         33
        .size:           1
        .value_kind:     by_value
      - .offset:         34
        .size:           1
        .value_kind:     by_value
      - .offset:         36
        .size:           4
        .value_kind:     by_value
      - .offset:         40
        .size:           264
        .value_kind:     by_value
      - .offset:         304
        .size:           96
        .value_kind:     by_value
      - .offset:         400
        .size:           80
        .value_kind:     by_value
      - .offset:         480
        .size:           80
        .value_kind:     by_value
      - .offset:         560
        .size:           112
        .value_kind:     by_value
      - .offset:         672
        .size:           40
        .value_kind:     by_value
      - .offset:         712
        .size:           4
        .value_kind:     hidden_block_count_x
      - .offset:         716
        .size:           4
        .value_kind:     hidden_block_count_y
      - .offset:         720
        .size:           4
        .value_kind:     hidden_block_count_z
      - .offset:         724
        .size:           2
        .value_kind:     hidden_group_size_x
      - .offset:         726
        .size:           2
        .value_kind:     hidden_group_size_y
      - .offset:         728
        .size:           2
        .value_kind:     hidden_group_size_z
      - .offset:         730
        .size:           2
        .value_kind:     hidden_remainder_x
      - .offset:         732
        .size:           2
        .value_kind:     hidden_remainder_y
      - .offset:         734
        .size:           2
        .value_kind:     hidden_remainder_z
      - .offset:         752
        .size:           8
        .value_kind:     hidden_global_offset_x
      - .offset:         760
        .size:           8
        .value_kind:     hidden_global_offset_y
      - .offset:         768
        .size:           8
        .value_kind:     hidden_global_offset_z
      - .offset:         776
        .size:           2
        .value_kind:     hidden_grid_dims
    .group_segment_fixed_size: 32768
    .kernarg_segment_align: 8
    .kernarg_segment_size: 968
    .language:       OpenCL C
    .language_version:
      - 2
      - 0
    .max_flat_workgroup_size: 256
    .name:           _ZN2ck16tensor_operation6device12_GLOBAL__N_137kernel_grouped_conv_fwd_dl_multiple_dINS_32GridwiseGemmDlMultipleD_km_kn_mnILi256EDF16_fNS_5TupleIJDF16_EEEDF16_NS0_12element_wise11PassThroughES8_NS7_7AddReluELNS_25InMemoryDataOperationEnumE0ENS_16TensorDescriptorINS5_IJNS_5EmbedINS5_IJiiiiEEESD_Lb0EEENS_11PassThroughIiEENS_3PadIiiiLb0EEESI_SG_SG_NSC_INS5_IJiiEEESJ_Lb0EEESK_SG_NS_23Merge_v2_magic_divisionINS5_IJiiiEEEEESN_NS_8RightPadIiiLb0EEESP_NS_7UnMergeISJ_Lb0EEESG_EEENS5_IJNS_8SequenceIJLi0EEEENST_IJLi1EEEENST_IJLi2EEEENST_IJLi3EEEENST_IJLi4EEEENST_IJLi5EEEENST_IJLi6EEEENST_IJLi7EEEENST_IJLi8EEEENST_IJLi9ELi11ELi13EEEENST_IJLi10ELi12ELi14EEEENST_IJLi15EEEENST_IJLi16EEEENST_IJLi18EEEENST_IJLi17EEEEEEENS5_IJNST_IJLi1ELi2ELi3ELi4EEEESZ_S10_S11_S12_NST_IJLi9EEEENST_IJLi10ELi11EEEENST_IJLi12ELi13EEEENST_IJLi14EEEES15_S16_S18_S17_NST_IJLi19ELi20EEEENST_IJLi21EEEEEEENST_IJLi19ELi21ELi20EEEElEENSB_INS5_IJSR_SP_SP_SR_SG_EEENS5_IJSU_SV_SW_SY_SX_EEENS5_IJNST_IJLi1ELi2EEEESX_SY_NST_IJLi5ELi6EEEES11_EEENST_IJLi5ELi7ELi6EEEElEENSB_INS5_IJSK_SP_SP_EEENS5_IJSU_SV_SW_EEENS5_IJS1M_SX_SY_EEENST_IJLi3ELi4EEEElEELi128ELi128ELi16ELi2ELi4ELi4ELi1ENST_IJLi8ELi2EEEES1W_NST_IJLi8ELi1ELi1ELi2EEEENST_IJLi2ELi1ELi128ELi1EEEENST_IJLi1ELi2ELi0ELi3EEEES1Z_NST_IJLi4ELi1ELi1ELi2EEEES1Z_NST_IJLi1ELi1ELi1ELi2EEEES1X_S1Y_S1Z_S1Z_S20_S1Z_S21_NST_IJLi0ELi1ELi2ELi3ELi4ELi5EEEELi5ELi4EEEDF16_NS5_IJPKDF16_EEEDF16_S8_S8_S9_NSB_INS5_IJSE_SG_SI_SI_SG_SG_SK_SK_SG_SN_SN_SP_SP_SR_SG_SG_NSQ_INS5_IJiNS_17integral_constantIiLi128EEEEEELb0EEENSF_INS27_IiLi2EEEEEEEENS5_IJSU_SV_SW_SX_SY_SZ_S10_S11_S12_S13_S14_S15_S16_S17_S18_NST_IJLi19EEEES1G_NST_IJLi20EEEEEEENS5_IJS1A_SZ_S10_S11_S12_S1B_S1C_S1D_S1E_S15_S16_S18_S17_S1F_S1G_NST_IJLi22EEEENST_IJLi23ELi24EEEENST_IJLi25EEEEEEENST_IJLi22ELi23ELi24ELi25EEEElEENSB_INS5_IJSR_SP_SP_SR_SG_SG_S2A_S2C_EEENS5_IJSU_SV_SW_SY_SX_SZ_S11_S10_EEENS5_IJS1M_SX_SY_S1N_S11_S12_NST_IJLi9ELi10EEEENST_IJLi11EEEEEEENST_IJLi8ELi9ELi10ELi11EEEElEENS5_IJNSB_INS5_IJSK_SP_SP_NSQ_INS5_IJiS2B_NS27_IiLi64EEEEEELb0EEES2W_EEENS5_IJSU_SV_SW_SX_SY_EEENS5_IJS1M_SX_SY_NST_IJLi5ELi6ELi7EEEENST_IJLi8ELi9ELi10EEEEEEENST_IJLi5ELi6ELi7ELi8ELi9ELi10EEEElEEEEES33_NS_31BlockToCTileMap_M00_N00_M01_N01ILi128ELi128ES1V_Lb0EEENS1_30ComputePtrOffsetOfStridedBatchILi1ELi1ELi1EvEELb1ELb0EEEvPKT0_S3B_T1_PT2_T3_T4_T5_iT6_T7_T8_T9_T10_T11_
    .private_segment_fixed_size: 132
    .sgpr_count:     84
    .sgpr_spill_count: 0
    .symbol:         _ZN2ck16tensor_operation6device12_GLOBAL__N_137kernel_grouped_conv_fwd_dl_multiple_dINS_32GridwiseGemmDlMultipleD_km_kn_mnILi256EDF16_fNS_5TupleIJDF16_EEEDF16_NS0_12element_wise11PassThroughES8_NS7_7AddReluELNS_25InMemoryDataOperationEnumE0ENS_16TensorDescriptorINS5_IJNS_5EmbedINS5_IJiiiiEEESD_Lb0EEENS_11PassThroughIiEENS_3PadIiiiLb0EEESI_SG_SG_NSC_INS5_IJiiEEESJ_Lb0EEESK_SG_NS_23Merge_v2_magic_divisionINS5_IJiiiEEEEESN_NS_8RightPadIiiLb0EEESP_NS_7UnMergeISJ_Lb0EEESG_EEENS5_IJNS_8SequenceIJLi0EEEENST_IJLi1EEEENST_IJLi2EEEENST_IJLi3EEEENST_IJLi4EEEENST_IJLi5EEEENST_IJLi6EEEENST_IJLi7EEEENST_IJLi8EEEENST_IJLi9ELi11ELi13EEEENST_IJLi10ELi12ELi14EEEENST_IJLi15EEEENST_IJLi16EEEENST_IJLi18EEEENST_IJLi17EEEEEEENS5_IJNST_IJLi1ELi2ELi3ELi4EEEESZ_S10_S11_S12_NST_IJLi9EEEENST_IJLi10ELi11EEEENST_IJLi12ELi13EEEENST_IJLi14EEEES15_S16_S18_S17_NST_IJLi19ELi20EEEENST_IJLi21EEEEEEENST_IJLi19ELi21ELi20EEEElEENSB_INS5_IJSR_SP_SP_SR_SG_EEENS5_IJSU_SV_SW_SY_SX_EEENS5_IJNST_IJLi1ELi2EEEESX_SY_NST_IJLi5ELi6EEEES11_EEENST_IJLi5ELi7ELi6EEEElEENSB_INS5_IJSK_SP_SP_EEENS5_IJSU_SV_SW_EEENS5_IJS1M_SX_SY_EEENST_IJLi3ELi4EEEElEELi128ELi128ELi16ELi2ELi4ELi4ELi1ENST_IJLi8ELi2EEEES1W_NST_IJLi8ELi1ELi1ELi2EEEENST_IJLi2ELi1ELi128ELi1EEEENST_IJLi1ELi2ELi0ELi3EEEES1Z_NST_IJLi4ELi1ELi1ELi2EEEES1Z_NST_IJLi1ELi1ELi1ELi2EEEES1X_S1Y_S1Z_S1Z_S20_S1Z_S21_NST_IJLi0ELi1ELi2ELi3ELi4ELi5EEEELi5ELi4EEEDF16_NS5_IJPKDF16_EEEDF16_S8_S8_S9_NSB_INS5_IJSE_SG_SI_SI_SG_SG_SK_SK_SG_SN_SN_SP_SP_SR_SG_SG_NSQ_INS5_IJiNS_17integral_constantIiLi128EEEEEELb0EEENSF_INS27_IiLi2EEEEEEEENS5_IJSU_SV_SW_SX_SY_SZ_S10_S11_S12_S13_S14_S15_S16_S17_S18_NST_IJLi19EEEES1G_NST_IJLi20EEEEEEENS5_IJS1A_SZ_S10_S11_S12_S1B_S1C_S1D_S1E_S15_S16_S18_S17_S1F_S1G_NST_IJLi22EEEENST_IJLi23ELi24EEEENST_IJLi25EEEEEEENST_IJLi22ELi23ELi24ELi25EEEElEENSB_INS5_IJSR_SP_SP_SR_SG_SG_S2A_S2C_EEENS5_IJSU_SV_SW_SY_SX_SZ_S11_S10_EEENS5_IJS1M_SX_SY_S1N_S11_S12_NST_IJLi9ELi10EEEENST_IJLi11EEEEEEENST_IJLi8ELi9ELi10ELi11EEEElEENS5_IJNSB_INS5_IJSK_SP_SP_NSQ_INS5_IJiS2B_NS27_IiLi64EEEEEELb0EEES2W_EEENS5_IJSU_SV_SW_SX_SY_EEENS5_IJS1M_SX_SY_NST_IJLi5ELi6ELi7EEEENST_IJLi8ELi9ELi10EEEEEEENST_IJLi5ELi6ELi7ELi8ELi9ELi10EEEElEEEEES33_NS_31BlockToCTileMap_M00_N00_M01_N01ILi128ELi128ES1V_Lb0EEENS1_30ComputePtrOffsetOfStridedBatchILi1ELi1ELi1EvEELb1ELb0EEEvPKT0_S3B_T1_PT2_T3_T4_T5_iT6_T7_T8_T9_T10_T11_.kd
    .uniform_work_group_size: 1
    .uses_dynamic_stack: false
    .vgpr_count:     128
    .vgpr_spill_count: 38
    .wavefront_size: 64
  - .args:
      - .actual_access:  read_only
        .address_space:  global
        .offset:         0
        .size:           8
        .value_kind:     global_buffer
      - .actual_access:  read_only
        .address_space:  global
        .offset:         8
        .size:           8
        .value_kind:     global_buffer
      - .address_space:  global
        .offset:         16
        .size:           8
        .value_kind:     global_buffer
      - .actual_access:  write_only
        .address_space:  global
        .offset:         24
        .size:           8
        .value_kind:     global_buffer
      - .offset:         32
        .size:           1
        .value_kind:     by_value
      - .offset:         33
        .size:           1
        .value_kind:     by_value
      - .offset:         34
        .size:           1
        .value_kind:     by_value
      - .offset:         36
        .size:           4
        .value_kind:     by_value
      - .offset:         40
        .size:           264
        .value_kind:     by_value
      - .offset:         304
        .size:           96
        .value_kind:     by_value
      - .offset:         400
        .size:           80
        .value_kind:     by_value
      - .offset:         480
        .size:           80
        .value_kind:     by_value
      - .offset:         560
        .size:           112
        .value_kind:     by_value
      - .offset:         672
        .size:           40
        .value_kind:     by_value
      - .offset:         712
        .size:           4
        .value_kind:     hidden_block_count_x
      - .offset:         716
        .size:           4
        .value_kind:     hidden_block_count_y
      - .offset:         720
        .size:           4
        .value_kind:     hidden_block_count_z
      - .offset:         724
        .size:           2
        .value_kind:     hidden_group_size_x
      - .offset:         726
        .size:           2
        .value_kind:     hidden_group_size_y
      - .offset:         728
        .size:           2
        .value_kind:     hidden_group_size_z
      - .offset:         730
        .size:           2
        .value_kind:     hidden_remainder_x
      - .offset:         732
        .size:           2
        .value_kind:     hidden_remainder_y
      - .offset:         734
        .size:           2
        .value_kind:     hidden_remainder_z
      - .offset:         752
        .size:           8
        .value_kind:     hidden_global_offset_x
      - .offset:         760
        .size:           8
        .value_kind:     hidden_global_offset_y
      - .offset:         768
        .size:           8
        .value_kind:     hidden_global_offset_z
      - .offset:         776
        .size:           2
        .value_kind:     hidden_grid_dims
    .group_segment_fixed_size: 32768
    .kernarg_segment_align: 8
    .kernarg_segment_size: 968
    .language:       OpenCL C
    .language_version:
      - 2
      - 0
    .max_flat_workgroup_size: 256
    .name:           _ZN2ck16tensor_operation6device12_GLOBAL__N_137kernel_grouped_conv_fwd_dl_multiple_dINS_32GridwiseGemmDlMultipleD_km_kn_mnILi256EDF16_fNS_5TupleIJDF16_EEEDF16_NS0_12element_wise11PassThroughES8_NS7_7AddReluELNS_25InMemoryDataOperationEnumE0ENS_16TensorDescriptorINS5_IJNS_5EmbedINS5_IJiiiiEEESD_Lb0EEENS_11PassThroughIiEENS_3PadIiiiLb0EEESI_SG_SG_NSC_INS5_IJiiEEESJ_Lb0EEESK_SG_NS_23Merge_v2_magic_divisionINS5_IJiiiEEEEESN_NS_8RightPadIiiLb0EEESP_NS_7UnMergeISJ_Lb0EEESG_EEENS5_IJNS_8SequenceIJLi0EEEENST_IJLi1EEEENST_IJLi2EEEENST_IJLi3EEEENST_IJLi4EEEENST_IJLi5EEEENST_IJLi6EEEENST_IJLi7EEEENST_IJLi8EEEENST_IJLi9ELi11ELi13EEEENST_IJLi10ELi12ELi14EEEENST_IJLi15EEEENST_IJLi16EEEENST_IJLi18EEEENST_IJLi17EEEEEEENS5_IJNST_IJLi1ELi2ELi3ELi4EEEESZ_S10_S11_S12_NST_IJLi9EEEENST_IJLi10ELi11EEEENST_IJLi12ELi13EEEENST_IJLi14EEEES15_S16_S18_S17_NST_IJLi19ELi20EEEENST_IJLi21EEEEEEENST_IJLi19ELi21ELi20EEEElEENSB_INS5_IJSR_SP_SP_SR_SG_EEENS5_IJSU_SV_SW_SY_SX_EEENS5_IJNST_IJLi1ELi2EEEESX_SY_NST_IJLi5ELi6EEEES11_EEENST_IJLi5ELi7ELi6EEEElEENSB_INS5_IJSK_SP_SP_EEENS5_IJSU_SV_SW_EEENS5_IJS1M_SX_SY_EEENST_IJLi3ELi4EEEElEELi128ELi128ELi16ELi2ELi4ELi4ELi1ENST_IJLi8ELi2EEEES1W_NST_IJLi8ELi1ELi1ELi2EEEENST_IJLi2ELi1ELi128ELi1EEEENST_IJLi1ELi2ELi0ELi3EEEES1Z_NST_IJLi4ELi1ELi1ELi2EEEES1Z_NST_IJLi1ELi1ELi1ELi2EEEES1X_S1Y_S1Z_S1Z_S20_S1Z_S21_NST_IJLi0ELi1ELi2ELi3ELi4ELi5EEEELi5ELi4EEEDF16_NS5_IJPKDF16_EEEDF16_S8_S8_S9_NSB_INS5_IJSE_SG_SI_SI_SG_SG_SK_SK_SG_SN_SN_SP_SP_SR_SG_SG_NSQ_INS5_IJiNS_17integral_constantIiLi128EEEEEELb0EEENSF_INS27_IiLi2EEEEEEEENS5_IJSU_SV_SW_SX_SY_SZ_S10_S11_S12_S13_S14_S15_S16_S17_S18_NST_IJLi19EEEES1G_NST_IJLi20EEEEEEENS5_IJS1A_SZ_S10_S11_S12_S1B_S1C_S1D_S1E_S15_S16_S18_S17_S1F_S1G_NST_IJLi22EEEENST_IJLi23ELi24EEEENST_IJLi25EEEEEEENST_IJLi22ELi23ELi24ELi25EEEElEENSB_INS5_IJSR_SP_SP_SR_SG_SG_S2A_S2C_EEENS5_IJSU_SV_SW_SY_SX_SZ_S11_S10_EEENS5_IJS1M_SX_SY_S1N_S11_S12_NST_IJLi9ELi10EEEENST_IJLi11EEEEEEENST_IJLi8ELi9ELi10ELi11EEEElEENS5_IJNSB_INS5_IJSK_SP_SP_NSQ_INS5_IJiS2B_NS27_IiLi64EEEEEELb0EEES2W_EEENS5_IJSU_SV_SW_SX_SY_EEENS5_IJS1M_SX_SY_NST_IJLi5ELi6ELi7EEEENST_IJLi8ELi9ELi10EEEEEEENST_IJLi5ELi6ELi7ELi8ELi9ELi10EEEElEEEEES33_NS_31BlockToCTileMap_M00_N00_M01_N01ILi128ELi128ES1V_Lb0EEENS1_30ComputePtrOffsetOfStridedBatchILi1ELi1ELi1EvEELb0ELb1EEEvPKT0_S3B_T1_PT2_T3_T4_T5_iT6_T7_T8_T9_T10_T11_
    .private_segment_fixed_size: 0
    .sgpr_count:     82
    .sgpr_spill_count: 0
    .symbol:         _ZN2ck16tensor_operation6device12_GLOBAL__N_137kernel_grouped_conv_fwd_dl_multiple_dINS_32GridwiseGemmDlMultipleD_km_kn_mnILi256EDF16_fNS_5TupleIJDF16_EEEDF16_NS0_12element_wise11PassThroughES8_NS7_7AddReluELNS_25InMemoryDataOperationEnumE0ENS_16TensorDescriptorINS5_IJNS_5EmbedINS5_IJiiiiEEESD_Lb0EEENS_11PassThroughIiEENS_3PadIiiiLb0EEESI_SG_SG_NSC_INS5_IJiiEEESJ_Lb0EEESK_SG_NS_23Merge_v2_magic_divisionINS5_IJiiiEEEEESN_NS_8RightPadIiiLb0EEESP_NS_7UnMergeISJ_Lb0EEESG_EEENS5_IJNS_8SequenceIJLi0EEEENST_IJLi1EEEENST_IJLi2EEEENST_IJLi3EEEENST_IJLi4EEEENST_IJLi5EEEENST_IJLi6EEEENST_IJLi7EEEENST_IJLi8EEEENST_IJLi9ELi11ELi13EEEENST_IJLi10ELi12ELi14EEEENST_IJLi15EEEENST_IJLi16EEEENST_IJLi18EEEENST_IJLi17EEEEEEENS5_IJNST_IJLi1ELi2ELi3ELi4EEEESZ_S10_S11_S12_NST_IJLi9EEEENST_IJLi10ELi11EEEENST_IJLi12ELi13EEEENST_IJLi14EEEES15_S16_S18_S17_NST_IJLi19ELi20EEEENST_IJLi21EEEEEEENST_IJLi19ELi21ELi20EEEElEENSB_INS5_IJSR_SP_SP_SR_SG_EEENS5_IJSU_SV_SW_SY_SX_EEENS5_IJNST_IJLi1ELi2EEEESX_SY_NST_IJLi5ELi6EEEES11_EEENST_IJLi5ELi7ELi6EEEElEENSB_INS5_IJSK_SP_SP_EEENS5_IJSU_SV_SW_EEENS5_IJS1M_SX_SY_EEENST_IJLi3ELi4EEEElEELi128ELi128ELi16ELi2ELi4ELi4ELi1ENST_IJLi8ELi2EEEES1W_NST_IJLi8ELi1ELi1ELi2EEEENST_IJLi2ELi1ELi128ELi1EEEENST_IJLi1ELi2ELi0ELi3EEEES1Z_NST_IJLi4ELi1ELi1ELi2EEEES1Z_NST_IJLi1ELi1ELi1ELi2EEEES1X_S1Y_S1Z_S1Z_S20_S1Z_S21_NST_IJLi0ELi1ELi2ELi3ELi4ELi5EEEELi5ELi4EEEDF16_NS5_IJPKDF16_EEEDF16_S8_S8_S9_NSB_INS5_IJSE_SG_SI_SI_SG_SG_SK_SK_SG_SN_SN_SP_SP_SR_SG_SG_NSQ_INS5_IJiNS_17integral_constantIiLi128EEEEEELb0EEENSF_INS27_IiLi2EEEEEEEENS5_IJSU_SV_SW_SX_SY_SZ_S10_S11_S12_S13_S14_S15_S16_S17_S18_NST_IJLi19EEEES1G_NST_IJLi20EEEEEEENS5_IJS1A_SZ_S10_S11_S12_S1B_S1C_S1D_S1E_S15_S16_S18_S17_S1F_S1G_NST_IJLi22EEEENST_IJLi23ELi24EEEENST_IJLi25EEEEEEENST_IJLi22ELi23ELi24ELi25EEEElEENSB_INS5_IJSR_SP_SP_SR_SG_SG_S2A_S2C_EEENS5_IJSU_SV_SW_SY_SX_SZ_S11_S10_EEENS5_IJS1M_SX_SY_S1N_S11_S12_NST_IJLi9ELi10EEEENST_IJLi11EEEEEEENST_IJLi8ELi9ELi10ELi11EEEElEENS5_IJNSB_INS5_IJSK_SP_SP_NSQ_INS5_IJiS2B_NS27_IiLi64EEEEEELb0EEES2W_EEENS5_IJSU_SV_SW_SX_SY_EEENS5_IJS1M_SX_SY_NST_IJLi5ELi6ELi7EEEENST_IJLi8ELi9ELi10EEEEEEENST_IJLi5ELi6ELi7ELi8ELi9ELi10EEEElEEEEES33_NS_31BlockToCTileMap_M00_N00_M01_N01ILi128ELi128ES1V_Lb0EEENS1_30ComputePtrOffsetOfStridedBatchILi1ELi1ELi1EvEELb0ELb1EEEvPKT0_S3B_T1_PT2_T3_T4_T5_iT6_T7_T8_T9_T10_T11_.kd
    .uniform_work_group_size: 1
    .uses_dynamic_stack: false
    .vgpr_count:     125
    .vgpr_spill_count: 0
    .wavefront_size: 64
  - .args:
      - .actual_access:  read_only
        .address_space:  global
        .offset:         0
        .size:           8
        .value_kind:     global_buffer
      - .actual_access:  read_only
        .address_space:  global
        .offset:         8
        .size:           8
        .value_kind:     global_buffer
      - .address_space:  global
        .offset:         16
        .size:           8
        .value_kind:     global_buffer
      - .actual_access:  write_only
        .address_space:  global
        .offset:         24
        .size:           8
        .value_kind:     global_buffer
      - .offset:         32
        .size:           1
        .value_kind:     by_value
      - .offset:         33
        .size:           1
        .value_kind:     by_value
      - .offset:         34
        .size:           1
        .value_kind:     by_value
      - .offset:         36
        .size:           4
        .value_kind:     by_value
      - .offset:         40
        .size:           264
        .value_kind:     by_value
      - .offset:         304
        .size:           96
        .value_kind:     by_value
      - .offset:         400
        .size:           80
        .value_kind:     by_value
      - .offset:         480
        .size:           80
        .value_kind:     by_value
      - .offset:         560
        .size:           112
        .value_kind:     by_value
      - .offset:         672
        .size:           40
        .value_kind:     by_value
      - .offset:         712
        .size:           4
        .value_kind:     hidden_block_count_x
      - .offset:         716
        .size:           4
        .value_kind:     hidden_block_count_y
      - .offset:         720
        .size:           4
        .value_kind:     hidden_block_count_z
      - .offset:         724
        .size:           2
        .value_kind:     hidden_group_size_x
      - .offset:         726
        .size:           2
        .value_kind:     hidden_group_size_y
      - .offset:         728
        .size:           2
        .value_kind:     hidden_group_size_z
      - .offset:         730
        .size:           2
        .value_kind:     hidden_remainder_x
      - .offset:         732
        .size:           2
        .value_kind:     hidden_remainder_y
      - .offset:         734
        .size:           2
        .value_kind:     hidden_remainder_z
      - .offset:         752
        .size:           8
        .value_kind:     hidden_global_offset_x
      - .offset:         760
        .size:           8
        .value_kind:     hidden_global_offset_y
      - .offset:         768
        .size:           8
        .value_kind:     hidden_global_offset_z
      - .offset:         776
        .size:           2
        .value_kind:     hidden_grid_dims
    .group_segment_fixed_size: 32768
    .kernarg_segment_align: 8
    .kernarg_segment_size: 968
    .language:       OpenCL C
    .language_version:
      - 2
      - 0
    .max_flat_workgroup_size: 256
    .name:           _ZN2ck16tensor_operation6device12_GLOBAL__N_137kernel_grouped_conv_fwd_dl_multiple_dINS_32GridwiseGemmDlMultipleD_km_kn_mnILi256EDF16_fNS_5TupleIJDF16_EEEDF16_NS0_12element_wise11PassThroughES8_NS7_7AddReluELNS_25InMemoryDataOperationEnumE0ENS_16TensorDescriptorINS5_IJNS_5EmbedINS5_IJiiiiEEESD_Lb0EEENS_11PassThroughIiEENS_3PadIiiiLb0EEESI_SG_SG_NSC_INS5_IJiiEEESJ_Lb0EEESK_SG_NS_23Merge_v2_magic_divisionINS5_IJiiiEEEEESN_NS_8RightPadIiiLb0EEESP_NS_7UnMergeISJ_Lb0EEESG_EEENS5_IJNS_8SequenceIJLi0EEEENST_IJLi1EEEENST_IJLi2EEEENST_IJLi3EEEENST_IJLi4EEEENST_IJLi5EEEENST_IJLi6EEEENST_IJLi7EEEENST_IJLi8EEEENST_IJLi9ELi11ELi13EEEENST_IJLi10ELi12ELi14EEEENST_IJLi15EEEENST_IJLi16EEEENST_IJLi18EEEENST_IJLi17EEEEEEENS5_IJNST_IJLi1ELi2ELi3ELi4EEEESZ_S10_S11_S12_NST_IJLi9EEEENST_IJLi10ELi11EEEENST_IJLi12ELi13EEEENST_IJLi14EEEES15_S16_S18_S17_NST_IJLi19ELi20EEEENST_IJLi21EEEEEEENST_IJLi19ELi21ELi20EEEElEENSB_INS5_IJSR_SP_SP_SR_SG_EEENS5_IJSU_SV_SW_SY_SX_EEENS5_IJNST_IJLi1ELi2EEEESX_SY_NST_IJLi5ELi6EEEES11_EEENST_IJLi5ELi7ELi6EEEElEENSB_INS5_IJSK_SP_SP_EEENS5_IJSU_SV_SW_EEENS5_IJS1M_SX_SY_EEENST_IJLi3ELi4EEEElEELi128ELi128ELi16ELi2ELi4ELi4ELi1ENST_IJLi8ELi2EEEES1W_NST_IJLi8ELi1ELi1ELi2EEEENST_IJLi2ELi1ELi128ELi1EEEENST_IJLi1ELi2ELi0ELi3EEEES1Z_NST_IJLi4ELi1ELi1ELi2EEEES1Z_NST_IJLi1ELi1ELi1ELi2EEEES1X_S1Y_S1Z_S1Z_S20_S1Z_S21_NST_IJLi0ELi1ELi2ELi3ELi4ELi5EEEELi5ELi4EEEDF16_NS5_IJPKDF16_EEEDF16_S8_S8_S9_NSB_INS5_IJSE_SG_SI_SI_SG_SG_SK_SK_SG_SN_SN_SP_SP_SR_SG_SG_NSQ_INS5_IJiNS_17integral_constantIiLi128EEEEEELb0EEENSF_INS27_IiLi2EEEEEEEENS5_IJSU_SV_SW_SX_SY_SZ_S10_S11_S12_S13_S14_S15_S16_S17_S18_NST_IJLi19EEEES1G_NST_IJLi20EEEEEEENS5_IJS1A_SZ_S10_S11_S12_S1B_S1C_S1D_S1E_S15_S16_S18_S17_S1F_S1G_NST_IJLi22EEEENST_IJLi23ELi24EEEENST_IJLi25EEEEEEENST_IJLi22ELi23ELi24ELi25EEEElEENSB_INS5_IJSR_SP_SP_SR_SG_SG_S2A_S2C_EEENS5_IJSU_SV_SW_SY_SX_SZ_S11_S10_EEENS5_IJS1M_SX_SY_S1N_S11_S12_NST_IJLi9ELi10EEEENST_IJLi11EEEEEEENST_IJLi8ELi9ELi10ELi11EEEElEENS5_IJNSB_INS5_IJSK_SP_SP_NSQ_INS5_IJiS2B_NS27_IiLi64EEEEEELb0EEES2W_EEENS5_IJSU_SV_SW_SX_SY_EEENS5_IJS1M_SX_SY_NST_IJLi5ELi6ELi7EEEENST_IJLi8ELi9ELi10EEEEEEENST_IJLi5ELi6ELi7ELi8ELi9ELi10EEEElEEEEES33_NS_31BlockToCTileMap_M00_N00_M01_N01ILi128ELi128ES1V_Lb0EEENS1_30ComputePtrOffsetOfStridedBatchILi1ELi1ELi1EvEELb0ELb0EEEvPKT0_S3B_T1_PT2_T3_T4_T5_iT6_T7_T8_T9_T10_T11_
    .private_segment_fixed_size: 0
    .sgpr_count:     82
    .sgpr_spill_count: 0
    .symbol:         _ZN2ck16tensor_operation6device12_GLOBAL__N_137kernel_grouped_conv_fwd_dl_multiple_dINS_32GridwiseGemmDlMultipleD_km_kn_mnILi256EDF16_fNS_5TupleIJDF16_EEEDF16_NS0_12element_wise11PassThroughES8_NS7_7AddReluELNS_25InMemoryDataOperationEnumE0ENS_16TensorDescriptorINS5_IJNS_5EmbedINS5_IJiiiiEEESD_Lb0EEENS_11PassThroughIiEENS_3PadIiiiLb0EEESI_SG_SG_NSC_INS5_IJiiEEESJ_Lb0EEESK_SG_NS_23Merge_v2_magic_divisionINS5_IJiiiEEEEESN_NS_8RightPadIiiLb0EEESP_NS_7UnMergeISJ_Lb0EEESG_EEENS5_IJNS_8SequenceIJLi0EEEENST_IJLi1EEEENST_IJLi2EEEENST_IJLi3EEEENST_IJLi4EEEENST_IJLi5EEEENST_IJLi6EEEENST_IJLi7EEEENST_IJLi8EEEENST_IJLi9ELi11ELi13EEEENST_IJLi10ELi12ELi14EEEENST_IJLi15EEEENST_IJLi16EEEENST_IJLi18EEEENST_IJLi17EEEEEEENS5_IJNST_IJLi1ELi2ELi3ELi4EEEESZ_S10_S11_S12_NST_IJLi9EEEENST_IJLi10ELi11EEEENST_IJLi12ELi13EEEENST_IJLi14EEEES15_S16_S18_S17_NST_IJLi19ELi20EEEENST_IJLi21EEEEEEENST_IJLi19ELi21ELi20EEEElEENSB_INS5_IJSR_SP_SP_SR_SG_EEENS5_IJSU_SV_SW_SY_SX_EEENS5_IJNST_IJLi1ELi2EEEESX_SY_NST_IJLi5ELi6EEEES11_EEENST_IJLi5ELi7ELi6EEEElEENSB_INS5_IJSK_SP_SP_EEENS5_IJSU_SV_SW_EEENS5_IJS1M_SX_SY_EEENST_IJLi3ELi4EEEElEELi128ELi128ELi16ELi2ELi4ELi4ELi1ENST_IJLi8ELi2EEEES1W_NST_IJLi8ELi1ELi1ELi2EEEENST_IJLi2ELi1ELi128ELi1EEEENST_IJLi1ELi2ELi0ELi3EEEES1Z_NST_IJLi4ELi1ELi1ELi2EEEES1Z_NST_IJLi1ELi1ELi1ELi2EEEES1X_S1Y_S1Z_S1Z_S20_S1Z_S21_NST_IJLi0ELi1ELi2ELi3ELi4ELi5EEEELi5ELi4EEEDF16_NS5_IJPKDF16_EEEDF16_S8_S8_S9_NSB_INS5_IJSE_SG_SI_SI_SG_SG_SK_SK_SG_SN_SN_SP_SP_SR_SG_SG_NSQ_INS5_IJiNS_17integral_constantIiLi128EEEEEELb0EEENSF_INS27_IiLi2EEEEEEEENS5_IJSU_SV_SW_SX_SY_SZ_S10_S11_S12_S13_S14_S15_S16_S17_S18_NST_IJLi19EEEES1G_NST_IJLi20EEEEEEENS5_IJS1A_SZ_S10_S11_S12_S1B_S1C_S1D_S1E_S15_S16_S18_S17_S1F_S1G_NST_IJLi22EEEENST_IJLi23ELi24EEEENST_IJLi25EEEEEEENST_IJLi22ELi23ELi24ELi25EEEElEENSB_INS5_IJSR_SP_SP_SR_SG_SG_S2A_S2C_EEENS5_IJSU_SV_SW_SY_SX_SZ_S11_S10_EEENS5_IJS1M_SX_SY_S1N_S11_S12_NST_IJLi9ELi10EEEENST_IJLi11EEEEEEENST_IJLi8ELi9ELi10ELi11EEEElEENS5_IJNSB_INS5_IJSK_SP_SP_NSQ_INS5_IJiS2B_NS27_IiLi64EEEEEELb0EEES2W_EEENS5_IJSU_SV_SW_SX_SY_EEENS5_IJS1M_SX_SY_NST_IJLi5ELi6ELi7EEEENST_IJLi8ELi9ELi10EEEEEEENST_IJLi5ELi6ELi7ELi8ELi9ELi10EEEElEEEEES33_NS_31BlockToCTileMap_M00_N00_M01_N01ILi128ELi128ES1V_Lb0EEENS1_30ComputePtrOffsetOfStridedBatchILi1ELi1ELi1EvEELb0ELb0EEEvPKT0_S3B_T1_PT2_T3_T4_T5_iT6_T7_T8_T9_T10_T11_.kd
    .uniform_work_group_size: 1
    .uses_dynamic_stack: false
    .vgpr_count:     120
    .vgpr_spill_count: 0
    .wavefront_size: 64
  - .args:
      - .actual_access:  read_only
        .address_space:  global
        .offset:         0
        .size:           8
        .value_kind:     global_buffer
      - .actual_access:  read_only
        .address_space:  global
        .offset:         8
        .size:           8
        .value_kind:     global_buffer
      - .address_space:  global
        .offset:         16
        .size:           8
        .value_kind:     global_buffer
      - .actual_access:  write_only
        .address_space:  global
        .offset:         24
        .size:           8
        .value_kind:     global_buffer
      - .offset:         32
        .size:           1
        .value_kind:     by_value
      - .offset:         33
        .size:           1
        .value_kind:     by_value
      - .offset:         34
        .size:           1
        .value_kind:     by_value
      - .offset:         36
        .size:           4
        .value_kind:     by_value
      - .offset:         40
        .size:           320
        .value_kind:     by_value
      - .offset:         360
        .size:           96
        .value_kind:     by_value
      - .offset:         456
        .size:           80
        .value_kind:     by_value
      - .offset:         536
        .size:           80
        .value_kind:     by_value
      - .offset:         616
        .size:           112
        .value_kind:     by_value
      - .offset:         728
        .size:           40
        .value_kind:     by_value
      - .offset:         768
        .size:           4
        .value_kind:     hidden_block_count_x
      - .offset:         772
        .size:           4
        .value_kind:     hidden_block_count_y
      - .offset:         776
        .size:           4
        .value_kind:     hidden_block_count_z
      - .offset:         780
        .size:           2
        .value_kind:     hidden_group_size_x
      - .offset:         782
        .size:           2
        .value_kind:     hidden_group_size_y
      - .offset:         784
        .size:           2
        .value_kind:     hidden_group_size_z
      - .offset:         786
        .size:           2
        .value_kind:     hidden_remainder_x
      - .offset:         788
        .size:           2
        .value_kind:     hidden_remainder_y
      - .offset:         790
        .size:           2
        .value_kind:     hidden_remainder_z
      - .offset:         808
        .size:           8
        .value_kind:     hidden_global_offset_x
      - .offset:         816
        .size:           8
        .value_kind:     hidden_global_offset_y
      - .offset:         824
        .size:           8
        .value_kind:     hidden_global_offset_z
      - .offset:         832
        .size:           2
        .value_kind:     hidden_grid_dims
    .group_segment_fixed_size: 32768
    .kernarg_segment_align: 8
    .kernarg_segment_size: 1024
    .language:       OpenCL C
    .language_version:
      - 2
      - 0
    .max_flat_workgroup_size: 256
    .name:           _ZN2ck16tensor_operation6device12_GLOBAL__N_137kernel_grouped_conv_fwd_dl_multiple_dINS_32GridwiseGemmDlMultipleD_km_kn_mnILi256EDF16_fNS_5TupleIJDF16_EEEDF16_NS0_12element_wise11PassThroughES8_NS7_7AddReluELNS_25InMemoryDataOperationEnumE0ENS_16TensorDescriptorINS5_IJNS_5EmbedINS5_IJiiiiiEEESD_Lb0EEENS_11PassThroughIiEENS_3PadIiiiLb0EEESI_SI_SG_SG_NSC_INS5_IJiiEEESJ_Lb0EEESK_SK_SG_NS_23Merge_v2_magic_divisionINS5_IJiiiiEEEEESN_NS_8RightPadIiiLb0EEESP_NS_7UnMergeISJ_Lb0EEESG_EEENS5_IJNS_8SequenceIJLi0EEEENST_IJLi1EEEENST_IJLi2EEEENST_IJLi3EEEENST_IJLi4EEEENST_IJLi5EEEENST_IJLi6EEEENST_IJLi7EEEENST_IJLi8EEEENST_IJLi9EEEENST_IJLi10EEEENST_IJLi11ELi13ELi15ELi17EEEENST_IJLi12ELi14ELi16ELi18EEEENST_IJLi19EEEENST_IJLi20EEEENST_IJLi22EEEENST_IJLi21EEEEEEENS5_IJNST_IJLi1ELi2ELi3ELi4ELi5EEEES10_S11_S12_S13_S14_NST_IJLi11EEEENST_IJLi12ELi13EEEENST_IJLi14ELi15EEEENST_IJLi16ELi17EEEENST_IJLi18EEEES17_S18_S1A_S19_NST_IJLi23ELi24EEEENST_IJLi25EEEEEEENST_IJLi23ELi25ELi24EEEElEENSB_INS5_IJSR_SP_SP_SR_SG_EEENS5_IJSU_SV_SW_SY_SX_EEENS5_IJNST_IJLi1ELi2EEEESX_SY_NST_IJLi5ELi6EEEES11_EEENST_IJLi5ELi7ELi6EEEElEENSB_INS5_IJSK_SP_SP_EEENS5_IJSU_SV_SW_EEENS5_IJS1P_SX_SY_EEENST_IJLi3ELi4EEEElEELi128ELi128ELi16ELi2ELi4ELi4ELi1ENST_IJLi8ELi2EEEES1Z_NST_IJLi8ELi1ELi1ELi2EEEENST_IJLi2ELi1ELi128ELi1EEEENST_IJLi1ELi2ELi0ELi3EEEES22_NST_IJLi4ELi1ELi1ELi2EEEES22_NST_IJLi1ELi1ELi1ELi2EEEES20_S21_S22_S22_S23_S22_S24_NST_IJLi0ELi1ELi2ELi3ELi4ELi5EEEELi5ELi4EEEDF16_NS5_IJPKDF16_EEEDF16_S8_S8_S9_NSB_INS5_IJSE_SG_SI_SI_SI_SG_SG_SK_SK_SK_SG_SN_SN_SP_SP_SR_SG_SG_NSQ_INS5_IJiNS_17integral_constantIiLi128EEEEEELb0EEENSF_INS2A_IiLi2EEEEEEEENS5_IJSU_SV_SW_SX_SY_SZ_S10_S11_S12_S13_S14_S15_S16_S17_S18_S19_S1A_NST_IJLi23EEEES1J_NST_IJLi24EEEEEEENS5_IJS1C_S10_S11_S12_S13_S14_S1D_S1E_S1F_S1G_S1H_S17_S18_S1A_S19_S1I_S1J_NST_IJLi26EEEENST_IJLi27ELi28EEEENST_IJLi29EEEEEEENST_IJLi26ELi27ELi28ELi29EEEElEENSB_INS5_IJSR_SP_SP_SR_SG_SG_S2D_S2F_EEENS5_IJSU_SV_SW_SY_SX_SZ_S11_S10_EEENS5_IJS1P_SX_SY_S1Q_S11_S12_NST_IJLi9ELi10EEEES1D_EEENST_IJLi8ELi9ELi10ELi11EEEElEENS5_IJNSB_INS5_IJSK_SP_SP_NSQ_INS5_IJiS2E_NS2A_IiLi64EEEEEELb0EEES2Y_EEENS5_IJSU_SV_SW_SX_SY_EEENS5_IJS1P_SX_SY_NST_IJLi5ELi6ELi7EEEENST_IJLi8ELi9ELi10EEEEEEENST_IJLi5ELi6ELi7ELi8ELi9ELi10EEEElEEEEES35_NS_31BlockToCTileMap_M00_N00_M01_N01ILi128ELi128ES1Y_Lb0EEENS1_30ComputePtrOffsetOfStridedBatchILi1ELi1ELi1EvEELb1ELb1EEEvPKT0_S3D_T1_PT2_T3_T4_T5_iT6_T7_T8_T9_T10_T11_
    .private_segment_fixed_size: 164
    .sgpr_count:     88
    .sgpr_spill_count: 0
    .symbol:         _ZN2ck16tensor_operation6device12_GLOBAL__N_137kernel_grouped_conv_fwd_dl_multiple_dINS_32GridwiseGemmDlMultipleD_km_kn_mnILi256EDF16_fNS_5TupleIJDF16_EEEDF16_NS0_12element_wise11PassThroughES8_NS7_7AddReluELNS_25InMemoryDataOperationEnumE0ENS_16TensorDescriptorINS5_IJNS_5EmbedINS5_IJiiiiiEEESD_Lb0EEENS_11PassThroughIiEENS_3PadIiiiLb0EEESI_SI_SG_SG_NSC_INS5_IJiiEEESJ_Lb0EEESK_SK_SG_NS_23Merge_v2_magic_divisionINS5_IJiiiiEEEEESN_NS_8RightPadIiiLb0EEESP_NS_7UnMergeISJ_Lb0EEESG_EEENS5_IJNS_8SequenceIJLi0EEEENST_IJLi1EEEENST_IJLi2EEEENST_IJLi3EEEENST_IJLi4EEEENST_IJLi5EEEENST_IJLi6EEEENST_IJLi7EEEENST_IJLi8EEEENST_IJLi9EEEENST_IJLi10EEEENST_IJLi11ELi13ELi15ELi17EEEENST_IJLi12ELi14ELi16ELi18EEEENST_IJLi19EEEENST_IJLi20EEEENST_IJLi22EEEENST_IJLi21EEEEEEENS5_IJNST_IJLi1ELi2ELi3ELi4ELi5EEEES10_S11_S12_S13_S14_NST_IJLi11EEEENST_IJLi12ELi13EEEENST_IJLi14ELi15EEEENST_IJLi16ELi17EEEENST_IJLi18EEEES17_S18_S1A_S19_NST_IJLi23ELi24EEEENST_IJLi25EEEEEEENST_IJLi23ELi25ELi24EEEElEENSB_INS5_IJSR_SP_SP_SR_SG_EEENS5_IJSU_SV_SW_SY_SX_EEENS5_IJNST_IJLi1ELi2EEEESX_SY_NST_IJLi5ELi6EEEES11_EEENST_IJLi5ELi7ELi6EEEElEENSB_INS5_IJSK_SP_SP_EEENS5_IJSU_SV_SW_EEENS5_IJS1P_SX_SY_EEENST_IJLi3ELi4EEEElEELi128ELi128ELi16ELi2ELi4ELi4ELi1ENST_IJLi8ELi2EEEES1Z_NST_IJLi8ELi1ELi1ELi2EEEENST_IJLi2ELi1ELi128ELi1EEEENST_IJLi1ELi2ELi0ELi3EEEES22_NST_IJLi4ELi1ELi1ELi2EEEES22_NST_IJLi1ELi1ELi1ELi2EEEES20_S21_S22_S22_S23_S22_S24_NST_IJLi0ELi1ELi2ELi3ELi4ELi5EEEELi5ELi4EEEDF16_NS5_IJPKDF16_EEEDF16_S8_S8_S9_NSB_INS5_IJSE_SG_SI_SI_SI_SG_SG_SK_SK_SK_SG_SN_SN_SP_SP_SR_SG_SG_NSQ_INS5_IJiNS_17integral_constantIiLi128EEEEEELb0EEENSF_INS2A_IiLi2EEEEEEEENS5_IJSU_SV_SW_SX_SY_SZ_S10_S11_S12_S13_S14_S15_S16_S17_S18_S19_S1A_NST_IJLi23EEEES1J_NST_IJLi24EEEEEEENS5_IJS1C_S10_S11_S12_S13_S14_S1D_S1E_S1F_S1G_S1H_S17_S18_S1A_S19_S1I_S1J_NST_IJLi26EEEENST_IJLi27ELi28EEEENST_IJLi29EEEEEEENST_IJLi26ELi27ELi28ELi29EEEElEENSB_INS5_IJSR_SP_SP_SR_SG_SG_S2D_S2F_EEENS5_IJSU_SV_SW_SY_SX_SZ_S11_S10_EEENS5_IJS1P_SX_SY_S1Q_S11_S12_NST_IJLi9ELi10EEEES1D_EEENST_IJLi8ELi9ELi10ELi11EEEElEENS5_IJNSB_INS5_IJSK_SP_SP_NSQ_INS5_IJiS2E_NS2A_IiLi64EEEEEELb0EEES2Y_EEENS5_IJSU_SV_SW_SX_SY_EEENS5_IJS1P_SX_SY_NST_IJLi5ELi6ELi7EEEENST_IJLi8ELi9ELi10EEEEEEENST_IJLi5ELi6ELi7ELi8ELi9ELi10EEEElEEEEES35_NS_31BlockToCTileMap_M00_N00_M01_N01ILi128ELi128ES1Y_Lb0EEENS1_30ComputePtrOffsetOfStridedBatchILi1ELi1ELi1EvEELb1ELb1EEEvPKT0_S3D_T1_PT2_T3_T4_T5_iT6_T7_T8_T9_T10_T11_.kd
    .uniform_work_group_size: 1
    .uses_dynamic_stack: false
    .vgpr_count:     128
    .vgpr_spill_count: 48
    .wavefront_size: 64
  - .args:
      - .actual_access:  read_only
        .address_space:  global
        .offset:         0
        .size:           8
        .value_kind:     global_buffer
      - .actual_access:  read_only
        .address_space:  global
        .offset:         8
        .size:           8
        .value_kind:     global_buffer
      - .address_space:  global
        .offset:         16
        .size:           8
        .value_kind:     global_buffer
      - .actual_access:  write_only
        .address_space:  global
        .offset:         24
        .size:           8
        .value_kind:     global_buffer
      - .offset:         32
        .size:           1
        .value_kind:     by_value
      - .offset:         33
        .size:           1
        .value_kind:     by_value
      - .offset:         34
        .size:           1
        .value_kind:     by_value
      - .offset:         36
        .size:           4
        .value_kind:     by_value
      - .offset:         40
        .size:           320
        .value_kind:     by_value
      - .offset:         360
        .size:           96
        .value_kind:     by_value
      - .offset:         456
        .size:           80
        .value_kind:     by_value
      - .offset:         536
        .size:           80
        .value_kind:     by_value
      - .offset:         616
        .size:           112
        .value_kind:     by_value
      - .offset:         728
        .size:           40
        .value_kind:     by_value
      - .offset:         768
        .size:           4
        .value_kind:     hidden_block_count_x
      - .offset:         772
        .size:           4
        .value_kind:     hidden_block_count_y
      - .offset:         776
        .size:           4
        .value_kind:     hidden_block_count_z
      - .offset:         780
        .size:           2
        .value_kind:     hidden_group_size_x
      - .offset:         782
        .size:           2
        .value_kind:     hidden_group_size_y
      - .offset:         784
        .size:           2
        .value_kind:     hidden_group_size_z
      - .offset:         786
        .size:           2
        .value_kind:     hidden_remainder_x
      - .offset:         788
        .size:           2
        .value_kind:     hidden_remainder_y
      - .offset:         790
        .size:           2
        .value_kind:     hidden_remainder_z
      - .offset:         808
        .size:           8
        .value_kind:     hidden_global_offset_x
      - .offset:         816
        .size:           8
        .value_kind:     hidden_global_offset_y
      - .offset:         824
        .size:           8
        .value_kind:     hidden_global_offset_z
      - .offset:         832
        .size:           2
        .value_kind:     hidden_grid_dims
    .group_segment_fixed_size: 32768
    .kernarg_segment_align: 8
    .kernarg_segment_size: 1024
    .language:       OpenCL C
    .language_version:
      - 2
      - 0
    .max_flat_workgroup_size: 256
    .name:           _ZN2ck16tensor_operation6device12_GLOBAL__N_137kernel_grouped_conv_fwd_dl_multiple_dINS_32GridwiseGemmDlMultipleD_km_kn_mnILi256EDF16_fNS_5TupleIJDF16_EEEDF16_NS0_12element_wise11PassThroughES8_NS7_7AddReluELNS_25InMemoryDataOperationEnumE0ENS_16TensorDescriptorINS5_IJNS_5EmbedINS5_IJiiiiiEEESD_Lb0EEENS_11PassThroughIiEENS_3PadIiiiLb0EEESI_SI_SG_SG_NSC_INS5_IJiiEEESJ_Lb0EEESK_SK_SG_NS_23Merge_v2_magic_divisionINS5_IJiiiiEEEEESN_NS_8RightPadIiiLb0EEESP_NS_7UnMergeISJ_Lb0EEESG_EEENS5_IJNS_8SequenceIJLi0EEEENST_IJLi1EEEENST_IJLi2EEEENST_IJLi3EEEENST_IJLi4EEEENST_IJLi5EEEENST_IJLi6EEEENST_IJLi7EEEENST_IJLi8EEEENST_IJLi9EEEENST_IJLi10EEEENST_IJLi11ELi13ELi15ELi17EEEENST_IJLi12ELi14ELi16ELi18EEEENST_IJLi19EEEENST_IJLi20EEEENST_IJLi22EEEENST_IJLi21EEEEEEENS5_IJNST_IJLi1ELi2ELi3ELi4ELi5EEEES10_S11_S12_S13_S14_NST_IJLi11EEEENST_IJLi12ELi13EEEENST_IJLi14ELi15EEEENST_IJLi16ELi17EEEENST_IJLi18EEEES17_S18_S1A_S19_NST_IJLi23ELi24EEEENST_IJLi25EEEEEEENST_IJLi23ELi25ELi24EEEElEENSB_INS5_IJSR_SP_SP_SR_SG_EEENS5_IJSU_SV_SW_SY_SX_EEENS5_IJNST_IJLi1ELi2EEEESX_SY_NST_IJLi5ELi6EEEES11_EEENST_IJLi5ELi7ELi6EEEElEENSB_INS5_IJSK_SP_SP_EEENS5_IJSU_SV_SW_EEENS5_IJS1P_SX_SY_EEENST_IJLi3ELi4EEEElEELi128ELi128ELi16ELi2ELi4ELi4ELi1ENST_IJLi8ELi2EEEES1Z_NST_IJLi8ELi1ELi1ELi2EEEENST_IJLi2ELi1ELi128ELi1EEEENST_IJLi1ELi2ELi0ELi3EEEES22_NST_IJLi4ELi1ELi1ELi2EEEES22_NST_IJLi1ELi1ELi1ELi2EEEES20_S21_S22_S22_S23_S22_S24_NST_IJLi0ELi1ELi2ELi3ELi4ELi5EEEELi5ELi4EEEDF16_NS5_IJPKDF16_EEEDF16_S8_S8_S9_NSB_INS5_IJSE_SG_SI_SI_SI_SG_SG_SK_SK_SK_SG_SN_SN_SP_SP_SR_SG_SG_NSQ_INS5_IJiNS_17integral_constantIiLi128EEEEEELb0EEENSF_INS2A_IiLi2EEEEEEEENS5_IJSU_SV_SW_SX_SY_SZ_S10_S11_S12_S13_S14_S15_S16_S17_S18_S19_S1A_NST_IJLi23EEEES1J_NST_IJLi24EEEEEEENS5_IJS1C_S10_S11_S12_S13_S14_S1D_S1E_S1F_S1G_S1H_S17_S18_S1A_S19_S1I_S1J_NST_IJLi26EEEENST_IJLi27ELi28EEEENST_IJLi29EEEEEEENST_IJLi26ELi27ELi28ELi29EEEElEENSB_INS5_IJSR_SP_SP_SR_SG_SG_S2D_S2F_EEENS5_IJSU_SV_SW_SY_SX_SZ_S11_S10_EEENS5_IJS1P_SX_SY_S1Q_S11_S12_NST_IJLi9ELi10EEEES1D_EEENST_IJLi8ELi9ELi10ELi11EEEElEENS5_IJNSB_INS5_IJSK_SP_SP_NSQ_INS5_IJiS2E_NS2A_IiLi64EEEEEELb0EEES2Y_EEENS5_IJSU_SV_SW_SX_SY_EEENS5_IJS1P_SX_SY_NST_IJLi5ELi6ELi7EEEENST_IJLi8ELi9ELi10EEEEEEENST_IJLi5ELi6ELi7ELi8ELi9ELi10EEEElEEEEES35_NS_31BlockToCTileMap_M00_N00_M01_N01ILi128ELi128ES1Y_Lb0EEENS1_30ComputePtrOffsetOfStridedBatchILi1ELi1ELi1EvEELb1ELb0EEEvPKT0_S3D_T1_PT2_T3_T4_T5_iT6_T7_T8_T9_T10_T11_
    .private_segment_fixed_size: 136
    .sgpr_count:     92
    .sgpr_spill_count: 0
    .symbol:         _ZN2ck16tensor_operation6device12_GLOBAL__N_137kernel_grouped_conv_fwd_dl_multiple_dINS_32GridwiseGemmDlMultipleD_km_kn_mnILi256EDF16_fNS_5TupleIJDF16_EEEDF16_NS0_12element_wise11PassThroughES8_NS7_7AddReluELNS_25InMemoryDataOperationEnumE0ENS_16TensorDescriptorINS5_IJNS_5EmbedINS5_IJiiiiiEEESD_Lb0EEENS_11PassThroughIiEENS_3PadIiiiLb0EEESI_SI_SG_SG_NSC_INS5_IJiiEEESJ_Lb0EEESK_SK_SG_NS_23Merge_v2_magic_divisionINS5_IJiiiiEEEEESN_NS_8RightPadIiiLb0EEESP_NS_7UnMergeISJ_Lb0EEESG_EEENS5_IJNS_8SequenceIJLi0EEEENST_IJLi1EEEENST_IJLi2EEEENST_IJLi3EEEENST_IJLi4EEEENST_IJLi5EEEENST_IJLi6EEEENST_IJLi7EEEENST_IJLi8EEEENST_IJLi9EEEENST_IJLi10EEEENST_IJLi11ELi13ELi15ELi17EEEENST_IJLi12ELi14ELi16ELi18EEEENST_IJLi19EEEENST_IJLi20EEEENST_IJLi22EEEENST_IJLi21EEEEEEENS5_IJNST_IJLi1ELi2ELi3ELi4ELi5EEEES10_S11_S12_S13_S14_NST_IJLi11EEEENST_IJLi12ELi13EEEENST_IJLi14ELi15EEEENST_IJLi16ELi17EEEENST_IJLi18EEEES17_S18_S1A_S19_NST_IJLi23ELi24EEEENST_IJLi25EEEEEEENST_IJLi23ELi25ELi24EEEElEENSB_INS5_IJSR_SP_SP_SR_SG_EEENS5_IJSU_SV_SW_SY_SX_EEENS5_IJNST_IJLi1ELi2EEEESX_SY_NST_IJLi5ELi6EEEES11_EEENST_IJLi5ELi7ELi6EEEElEENSB_INS5_IJSK_SP_SP_EEENS5_IJSU_SV_SW_EEENS5_IJS1P_SX_SY_EEENST_IJLi3ELi4EEEElEELi128ELi128ELi16ELi2ELi4ELi4ELi1ENST_IJLi8ELi2EEEES1Z_NST_IJLi8ELi1ELi1ELi2EEEENST_IJLi2ELi1ELi128ELi1EEEENST_IJLi1ELi2ELi0ELi3EEEES22_NST_IJLi4ELi1ELi1ELi2EEEES22_NST_IJLi1ELi1ELi1ELi2EEEES20_S21_S22_S22_S23_S22_S24_NST_IJLi0ELi1ELi2ELi3ELi4ELi5EEEELi5ELi4EEEDF16_NS5_IJPKDF16_EEEDF16_S8_S8_S9_NSB_INS5_IJSE_SG_SI_SI_SI_SG_SG_SK_SK_SK_SG_SN_SN_SP_SP_SR_SG_SG_NSQ_INS5_IJiNS_17integral_constantIiLi128EEEEEELb0EEENSF_INS2A_IiLi2EEEEEEEENS5_IJSU_SV_SW_SX_SY_SZ_S10_S11_S12_S13_S14_S15_S16_S17_S18_S19_S1A_NST_IJLi23EEEES1J_NST_IJLi24EEEEEEENS5_IJS1C_S10_S11_S12_S13_S14_S1D_S1E_S1F_S1G_S1H_S17_S18_S1A_S19_S1I_S1J_NST_IJLi26EEEENST_IJLi27ELi28EEEENST_IJLi29EEEEEEENST_IJLi26ELi27ELi28ELi29EEEElEENSB_INS5_IJSR_SP_SP_SR_SG_SG_S2D_S2F_EEENS5_IJSU_SV_SW_SY_SX_SZ_S11_S10_EEENS5_IJS1P_SX_SY_S1Q_S11_S12_NST_IJLi9ELi10EEEES1D_EEENST_IJLi8ELi9ELi10ELi11EEEElEENS5_IJNSB_INS5_IJSK_SP_SP_NSQ_INS5_IJiS2E_NS2A_IiLi64EEEEEELb0EEES2Y_EEENS5_IJSU_SV_SW_SX_SY_EEENS5_IJS1P_SX_SY_NST_IJLi5ELi6ELi7EEEENST_IJLi8ELi9ELi10EEEEEEENST_IJLi5ELi6ELi7ELi8ELi9ELi10EEEElEEEEES35_NS_31BlockToCTileMap_M00_N00_M01_N01ILi128ELi128ES1Y_Lb0EEENS1_30ComputePtrOffsetOfStridedBatchILi1ELi1ELi1EvEELb1ELb0EEEvPKT0_S3D_T1_PT2_T3_T4_T5_iT6_T7_T8_T9_T10_T11_.kd
    .uniform_work_group_size: 1
    .uses_dynamic_stack: false
    .vgpr_count:     128
    .vgpr_spill_count: 38
    .wavefront_size: 64
  - .args:
      - .actual_access:  read_only
        .address_space:  global
        .offset:         0
        .size:           8
        .value_kind:     global_buffer
      - .actual_access:  read_only
        .address_space:  global
        .offset:         8
        .size:           8
        .value_kind:     global_buffer
      - .address_space:  global
        .offset:         16
        .size:           8
        .value_kind:     global_buffer
      - .actual_access:  write_only
        .address_space:  global
        .offset:         24
        .size:           8
        .value_kind:     global_buffer
      - .offset:         32
        .size:           1
        .value_kind:     by_value
      - .offset:         33
        .size:           1
        .value_kind:     by_value
      - .offset:         34
        .size:           1
        .value_kind:     by_value
      - .offset:         36
        .size:           4
        .value_kind:     by_value
      - .offset:         40
        .size:           320
        .value_kind:     by_value
      - .offset:         360
        .size:           96
        .value_kind:     by_value
      - .offset:         456
        .size:           80
        .value_kind:     by_value
      - .offset:         536
        .size:           80
        .value_kind:     by_value
      - .offset:         616
        .size:           112
        .value_kind:     by_value
      - .offset:         728
        .size:           40
        .value_kind:     by_value
      - .offset:         768
        .size:           4
        .value_kind:     hidden_block_count_x
      - .offset:         772
        .size:           4
        .value_kind:     hidden_block_count_y
      - .offset:         776
        .size:           4
        .value_kind:     hidden_block_count_z
      - .offset:         780
        .size:           2
        .value_kind:     hidden_group_size_x
      - .offset:         782
        .size:           2
        .value_kind:     hidden_group_size_y
      - .offset:         784
        .size:           2
        .value_kind:     hidden_group_size_z
      - .offset:         786
        .size:           2
        .value_kind:     hidden_remainder_x
      - .offset:         788
        .size:           2
        .value_kind:     hidden_remainder_y
      - .offset:         790
        .size:           2
        .value_kind:     hidden_remainder_z
      - .offset:         808
        .size:           8
        .value_kind:     hidden_global_offset_x
      - .offset:         816
        .size:           8
        .value_kind:     hidden_global_offset_y
      - .offset:         824
        .size:           8
        .value_kind:     hidden_global_offset_z
      - .offset:         832
        .size:           2
        .value_kind:     hidden_grid_dims
    .group_segment_fixed_size: 32768
    .kernarg_segment_align: 8
    .kernarg_segment_size: 1024
    .language:       OpenCL C
    .language_version:
      - 2
      - 0
    .max_flat_workgroup_size: 256
    .name:           _ZN2ck16tensor_operation6device12_GLOBAL__N_137kernel_grouped_conv_fwd_dl_multiple_dINS_32GridwiseGemmDlMultipleD_km_kn_mnILi256EDF16_fNS_5TupleIJDF16_EEEDF16_NS0_12element_wise11PassThroughES8_NS7_7AddReluELNS_25InMemoryDataOperationEnumE0ENS_16TensorDescriptorINS5_IJNS_5EmbedINS5_IJiiiiiEEESD_Lb0EEENS_11PassThroughIiEENS_3PadIiiiLb0EEESI_SI_SG_SG_NSC_INS5_IJiiEEESJ_Lb0EEESK_SK_SG_NS_23Merge_v2_magic_divisionINS5_IJiiiiEEEEESN_NS_8RightPadIiiLb0EEESP_NS_7UnMergeISJ_Lb0EEESG_EEENS5_IJNS_8SequenceIJLi0EEEENST_IJLi1EEEENST_IJLi2EEEENST_IJLi3EEEENST_IJLi4EEEENST_IJLi5EEEENST_IJLi6EEEENST_IJLi7EEEENST_IJLi8EEEENST_IJLi9EEEENST_IJLi10EEEENST_IJLi11ELi13ELi15ELi17EEEENST_IJLi12ELi14ELi16ELi18EEEENST_IJLi19EEEENST_IJLi20EEEENST_IJLi22EEEENST_IJLi21EEEEEEENS5_IJNST_IJLi1ELi2ELi3ELi4ELi5EEEES10_S11_S12_S13_S14_NST_IJLi11EEEENST_IJLi12ELi13EEEENST_IJLi14ELi15EEEENST_IJLi16ELi17EEEENST_IJLi18EEEES17_S18_S1A_S19_NST_IJLi23ELi24EEEENST_IJLi25EEEEEEENST_IJLi23ELi25ELi24EEEElEENSB_INS5_IJSR_SP_SP_SR_SG_EEENS5_IJSU_SV_SW_SY_SX_EEENS5_IJNST_IJLi1ELi2EEEESX_SY_NST_IJLi5ELi6EEEES11_EEENST_IJLi5ELi7ELi6EEEElEENSB_INS5_IJSK_SP_SP_EEENS5_IJSU_SV_SW_EEENS5_IJS1P_SX_SY_EEENST_IJLi3ELi4EEEElEELi128ELi128ELi16ELi2ELi4ELi4ELi1ENST_IJLi8ELi2EEEES1Z_NST_IJLi8ELi1ELi1ELi2EEEENST_IJLi2ELi1ELi128ELi1EEEENST_IJLi1ELi2ELi0ELi3EEEES22_NST_IJLi4ELi1ELi1ELi2EEEES22_NST_IJLi1ELi1ELi1ELi2EEEES20_S21_S22_S22_S23_S22_S24_NST_IJLi0ELi1ELi2ELi3ELi4ELi5EEEELi5ELi4EEEDF16_NS5_IJPKDF16_EEEDF16_S8_S8_S9_NSB_INS5_IJSE_SG_SI_SI_SI_SG_SG_SK_SK_SK_SG_SN_SN_SP_SP_SR_SG_SG_NSQ_INS5_IJiNS_17integral_constantIiLi128EEEEEELb0EEENSF_INS2A_IiLi2EEEEEEEENS5_IJSU_SV_SW_SX_SY_SZ_S10_S11_S12_S13_S14_S15_S16_S17_S18_S19_S1A_NST_IJLi23EEEES1J_NST_IJLi24EEEEEEENS5_IJS1C_S10_S11_S12_S13_S14_S1D_S1E_S1F_S1G_S1H_S17_S18_S1A_S19_S1I_S1J_NST_IJLi26EEEENST_IJLi27ELi28EEEENST_IJLi29EEEEEEENST_IJLi26ELi27ELi28ELi29EEEElEENSB_INS5_IJSR_SP_SP_SR_SG_SG_S2D_S2F_EEENS5_IJSU_SV_SW_SY_SX_SZ_S11_S10_EEENS5_IJS1P_SX_SY_S1Q_S11_S12_NST_IJLi9ELi10EEEES1D_EEENST_IJLi8ELi9ELi10ELi11EEEElEENS5_IJNSB_INS5_IJSK_SP_SP_NSQ_INS5_IJiS2E_NS2A_IiLi64EEEEEELb0EEES2Y_EEENS5_IJSU_SV_SW_SX_SY_EEENS5_IJS1P_SX_SY_NST_IJLi5ELi6ELi7EEEENST_IJLi8ELi9ELi10EEEEEEENST_IJLi5ELi6ELi7ELi8ELi9ELi10EEEElEEEEES35_NS_31BlockToCTileMap_M00_N00_M01_N01ILi128ELi128ES1Y_Lb0EEENS1_30ComputePtrOffsetOfStridedBatchILi1ELi1ELi1EvEELb0ELb1EEEvPKT0_S3D_T1_PT2_T3_T4_T5_iT6_T7_T8_T9_T10_T11_
    .private_segment_fixed_size: 0
    .sgpr_count:     85
    .sgpr_spill_count: 0
    .symbol:         _ZN2ck16tensor_operation6device12_GLOBAL__N_137kernel_grouped_conv_fwd_dl_multiple_dINS_32GridwiseGemmDlMultipleD_km_kn_mnILi256EDF16_fNS_5TupleIJDF16_EEEDF16_NS0_12element_wise11PassThroughES8_NS7_7AddReluELNS_25InMemoryDataOperationEnumE0ENS_16TensorDescriptorINS5_IJNS_5EmbedINS5_IJiiiiiEEESD_Lb0EEENS_11PassThroughIiEENS_3PadIiiiLb0EEESI_SI_SG_SG_NSC_INS5_IJiiEEESJ_Lb0EEESK_SK_SG_NS_23Merge_v2_magic_divisionINS5_IJiiiiEEEEESN_NS_8RightPadIiiLb0EEESP_NS_7UnMergeISJ_Lb0EEESG_EEENS5_IJNS_8SequenceIJLi0EEEENST_IJLi1EEEENST_IJLi2EEEENST_IJLi3EEEENST_IJLi4EEEENST_IJLi5EEEENST_IJLi6EEEENST_IJLi7EEEENST_IJLi8EEEENST_IJLi9EEEENST_IJLi10EEEENST_IJLi11ELi13ELi15ELi17EEEENST_IJLi12ELi14ELi16ELi18EEEENST_IJLi19EEEENST_IJLi20EEEENST_IJLi22EEEENST_IJLi21EEEEEEENS5_IJNST_IJLi1ELi2ELi3ELi4ELi5EEEES10_S11_S12_S13_S14_NST_IJLi11EEEENST_IJLi12ELi13EEEENST_IJLi14ELi15EEEENST_IJLi16ELi17EEEENST_IJLi18EEEES17_S18_S1A_S19_NST_IJLi23ELi24EEEENST_IJLi25EEEEEEENST_IJLi23ELi25ELi24EEEElEENSB_INS5_IJSR_SP_SP_SR_SG_EEENS5_IJSU_SV_SW_SY_SX_EEENS5_IJNST_IJLi1ELi2EEEESX_SY_NST_IJLi5ELi6EEEES11_EEENST_IJLi5ELi7ELi6EEEElEENSB_INS5_IJSK_SP_SP_EEENS5_IJSU_SV_SW_EEENS5_IJS1P_SX_SY_EEENST_IJLi3ELi4EEEElEELi128ELi128ELi16ELi2ELi4ELi4ELi1ENST_IJLi8ELi2EEEES1Z_NST_IJLi8ELi1ELi1ELi2EEEENST_IJLi2ELi1ELi128ELi1EEEENST_IJLi1ELi2ELi0ELi3EEEES22_NST_IJLi4ELi1ELi1ELi2EEEES22_NST_IJLi1ELi1ELi1ELi2EEEES20_S21_S22_S22_S23_S22_S24_NST_IJLi0ELi1ELi2ELi3ELi4ELi5EEEELi5ELi4EEEDF16_NS5_IJPKDF16_EEEDF16_S8_S8_S9_NSB_INS5_IJSE_SG_SI_SI_SI_SG_SG_SK_SK_SK_SG_SN_SN_SP_SP_SR_SG_SG_NSQ_INS5_IJiNS_17integral_constantIiLi128EEEEEELb0EEENSF_INS2A_IiLi2EEEEEEEENS5_IJSU_SV_SW_SX_SY_SZ_S10_S11_S12_S13_S14_S15_S16_S17_S18_S19_S1A_NST_IJLi23EEEES1J_NST_IJLi24EEEEEEENS5_IJS1C_S10_S11_S12_S13_S14_S1D_S1E_S1F_S1G_S1H_S17_S18_S1A_S19_S1I_S1J_NST_IJLi26EEEENST_IJLi27ELi28EEEENST_IJLi29EEEEEEENST_IJLi26ELi27ELi28ELi29EEEElEENSB_INS5_IJSR_SP_SP_SR_SG_SG_S2D_S2F_EEENS5_IJSU_SV_SW_SY_SX_SZ_S11_S10_EEENS5_IJS1P_SX_SY_S1Q_S11_S12_NST_IJLi9ELi10EEEES1D_EEENST_IJLi8ELi9ELi10ELi11EEEElEENS5_IJNSB_INS5_IJSK_SP_SP_NSQ_INS5_IJiS2E_NS2A_IiLi64EEEEEELb0EEES2Y_EEENS5_IJSU_SV_SW_SX_SY_EEENS5_IJS1P_SX_SY_NST_IJLi5ELi6ELi7EEEENST_IJLi8ELi9ELi10EEEEEEENST_IJLi5ELi6ELi7ELi8ELi9ELi10EEEElEEEEES35_NS_31BlockToCTileMap_M00_N00_M01_N01ILi128ELi128ES1Y_Lb0EEENS1_30ComputePtrOffsetOfStridedBatchILi1ELi1ELi1EvEELb0ELb1EEEvPKT0_S3D_T1_PT2_T3_T4_T5_iT6_T7_T8_T9_T10_T11_.kd
    .uniform_work_group_size: 1
    .uses_dynamic_stack: false
    .vgpr_count:     125
    .vgpr_spill_count: 0
    .wavefront_size: 64
  - .args:
      - .actual_access:  read_only
        .address_space:  global
        .offset:         0
        .size:           8
        .value_kind:     global_buffer
      - .actual_access:  read_only
        .address_space:  global
        .offset:         8
        .size:           8
        .value_kind:     global_buffer
      - .address_space:  global
        .offset:         16
        .size:           8
        .value_kind:     global_buffer
      - .actual_access:  write_only
        .address_space:  global
        .offset:         24
        .size:           8
        .value_kind:     global_buffer
      - .offset:         32
        .size:           1
        .value_kind:     by_value
      - .offset:         33
        .size:           1
        .value_kind:     by_value
      - .offset:         34
        .size:           1
        .value_kind:     by_value
      - .offset:         36
        .size:           4
        .value_kind:     by_value
      - .offset:         40
        .size:           320
        .value_kind:     by_value
      - .offset:         360
        .size:           96
        .value_kind:     by_value
      - .offset:         456
        .size:           80
        .value_kind:     by_value
      - .offset:         536
        .size:           80
        .value_kind:     by_value
      - .offset:         616
        .size:           112
        .value_kind:     by_value
      - .offset:         728
        .size:           40
        .value_kind:     by_value
      - .offset:         768
        .size:           4
        .value_kind:     hidden_block_count_x
      - .offset:         772
        .size:           4
        .value_kind:     hidden_block_count_y
      - .offset:         776
        .size:           4
        .value_kind:     hidden_block_count_z
      - .offset:         780
        .size:           2
        .value_kind:     hidden_group_size_x
      - .offset:         782
        .size:           2
        .value_kind:     hidden_group_size_y
      - .offset:         784
        .size:           2
        .value_kind:     hidden_group_size_z
      - .offset:         786
        .size:           2
        .value_kind:     hidden_remainder_x
      - .offset:         788
        .size:           2
        .value_kind:     hidden_remainder_y
      - .offset:         790
        .size:           2
        .value_kind:     hidden_remainder_z
      - .offset:         808
        .size:           8
        .value_kind:     hidden_global_offset_x
      - .offset:         816
        .size:           8
        .value_kind:     hidden_global_offset_y
      - .offset:         824
        .size:           8
        .value_kind:     hidden_global_offset_z
      - .offset:         832
        .size:           2
        .value_kind:     hidden_grid_dims
    .group_segment_fixed_size: 32768
    .kernarg_segment_align: 8
    .kernarg_segment_size: 1024
    .language:       OpenCL C
    .language_version:
      - 2
      - 0
    .max_flat_workgroup_size: 256
    .name:           _ZN2ck16tensor_operation6device12_GLOBAL__N_137kernel_grouped_conv_fwd_dl_multiple_dINS_32GridwiseGemmDlMultipleD_km_kn_mnILi256EDF16_fNS_5TupleIJDF16_EEEDF16_NS0_12element_wise11PassThroughES8_NS7_7AddReluELNS_25InMemoryDataOperationEnumE0ENS_16TensorDescriptorINS5_IJNS_5EmbedINS5_IJiiiiiEEESD_Lb0EEENS_11PassThroughIiEENS_3PadIiiiLb0EEESI_SI_SG_SG_NSC_INS5_IJiiEEESJ_Lb0EEESK_SK_SG_NS_23Merge_v2_magic_divisionINS5_IJiiiiEEEEESN_NS_8RightPadIiiLb0EEESP_NS_7UnMergeISJ_Lb0EEESG_EEENS5_IJNS_8SequenceIJLi0EEEENST_IJLi1EEEENST_IJLi2EEEENST_IJLi3EEEENST_IJLi4EEEENST_IJLi5EEEENST_IJLi6EEEENST_IJLi7EEEENST_IJLi8EEEENST_IJLi9EEEENST_IJLi10EEEENST_IJLi11ELi13ELi15ELi17EEEENST_IJLi12ELi14ELi16ELi18EEEENST_IJLi19EEEENST_IJLi20EEEENST_IJLi22EEEENST_IJLi21EEEEEEENS5_IJNST_IJLi1ELi2ELi3ELi4ELi5EEEES10_S11_S12_S13_S14_NST_IJLi11EEEENST_IJLi12ELi13EEEENST_IJLi14ELi15EEEENST_IJLi16ELi17EEEENST_IJLi18EEEES17_S18_S1A_S19_NST_IJLi23ELi24EEEENST_IJLi25EEEEEEENST_IJLi23ELi25ELi24EEEElEENSB_INS5_IJSR_SP_SP_SR_SG_EEENS5_IJSU_SV_SW_SY_SX_EEENS5_IJNST_IJLi1ELi2EEEESX_SY_NST_IJLi5ELi6EEEES11_EEENST_IJLi5ELi7ELi6EEEElEENSB_INS5_IJSK_SP_SP_EEENS5_IJSU_SV_SW_EEENS5_IJS1P_SX_SY_EEENST_IJLi3ELi4EEEElEELi128ELi128ELi16ELi2ELi4ELi4ELi1ENST_IJLi8ELi2EEEES1Z_NST_IJLi8ELi1ELi1ELi2EEEENST_IJLi2ELi1ELi128ELi1EEEENST_IJLi1ELi2ELi0ELi3EEEES22_NST_IJLi4ELi1ELi1ELi2EEEES22_NST_IJLi1ELi1ELi1ELi2EEEES20_S21_S22_S22_S23_S22_S24_NST_IJLi0ELi1ELi2ELi3ELi4ELi5EEEELi5ELi4EEEDF16_NS5_IJPKDF16_EEEDF16_S8_S8_S9_NSB_INS5_IJSE_SG_SI_SI_SI_SG_SG_SK_SK_SK_SG_SN_SN_SP_SP_SR_SG_SG_NSQ_INS5_IJiNS_17integral_constantIiLi128EEEEEELb0EEENSF_INS2A_IiLi2EEEEEEEENS5_IJSU_SV_SW_SX_SY_SZ_S10_S11_S12_S13_S14_S15_S16_S17_S18_S19_S1A_NST_IJLi23EEEES1J_NST_IJLi24EEEEEEENS5_IJS1C_S10_S11_S12_S13_S14_S1D_S1E_S1F_S1G_S1H_S17_S18_S1A_S19_S1I_S1J_NST_IJLi26EEEENST_IJLi27ELi28EEEENST_IJLi29EEEEEEENST_IJLi26ELi27ELi28ELi29EEEElEENSB_INS5_IJSR_SP_SP_SR_SG_SG_S2D_S2F_EEENS5_IJSU_SV_SW_SY_SX_SZ_S11_S10_EEENS5_IJS1P_SX_SY_S1Q_S11_S12_NST_IJLi9ELi10EEEES1D_EEENST_IJLi8ELi9ELi10ELi11EEEElEENS5_IJNSB_INS5_IJSK_SP_SP_NSQ_INS5_IJiS2E_NS2A_IiLi64EEEEEELb0EEES2Y_EEENS5_IJSU_SV_SW_SX_SY_EEENS5_IJS1P_SX_SY_NST_IJLi5ELi6ELi7EEEENST_IJLi8ELi9ELi10EEEEEEENST_IJLi5ELi6ELi7ELi8ELi9ELi10EEEElEEEEES35_NS_31BlockToCTileMap_M00_N00_M01_N01ILi128ELi128ES1Y_Lb0EEENS1_30ComputePtrOffsetOfStridedBatchILi1ELi1ELi1EvEELb0ELb0EEEvPKT0_S3D_T1_PT2_T3_T4_T5_iT6_T7_T8_T9_T10_T11_
    .private_segment_fixed_size: 0
    .sgpr_count:     84
    .sgpr_spill_count: 0
    .symbol:         _ZN2ck16tensor_operation6device12_GLOBAL__N_137kernel_grouped_conv_fwd_dl_multiple_dINS_32GridwiseGemmDlMultipleD_km_kn_mnILi256EDF16_fNS_5TupleIJDF16_EEEDF16_NS0_12element_wise11PassThroughES8_NS7_7AddReluELNS_25InMemoryDataOperationEnumE0ENS_16TensorDescriptorINS5_IJNS_5EmbedINS5_IJiiiiiEEESD_Lb0EEENS_11PassThroughIiEENS_3PadIiiiLb0EEESI_SI_SG_SG_NSC_INS5_IJiiEEESJ_Lb0EEESK_SK_SG_NS_23Merge_v2_magic_divisionINS5_IJiiiiEEEEESN_NS_8RightPadIiiLb0EEESP_NS_7UnMergeISJ_Lb0EEESG_EEENS5_IJNS_8SequenceIJLi0EEEENST_IJLi1EEEENST_IJLi2EEEENST_IJLi3EEEENST_IJLi4EEEENST_IJLi5EEEENST_IJLi6EEEENST_IJLi7EEEENST_IJLi8EEEENST_IJLi9EEEENST_IJLi10EEEENST_IJLi11ELi13ELi15ELi17EEEENST_IJLi12ELi14ELi16ELi18EEEENST_IJLi19EEEENST_IJLi20EEEENST_IJLi22EEEENST_IJLi21EEEEEEENS5_IJNST_IJLi1ELi2ELi3ELi4ELi5EEEES10_S11_S12_S13_S14_NST_IJLi11EEEENST_IJLi12ELi13EEEENST_IJLi14ELi15EEEENST_IJLi16ELi17EEEENST_IJLi18EEEES17_S18_S1A_S19_NST_IJLi23ELi24EEEENST_IJLi25EEEEEEENST_IJLi23ELi25ELi24EEEElEENSB_INS5_IJSR_SP_SP_SR_SG_EEENS5_IJSU_SV_SW_SY_SX_EEENS5_IJNST_IJLi1ELi2EEEESX_SY_NST_IJLi5ELi6EEEES11_EEENST_IJLi5ELi7ELi6EEEElEENSB_INS5_IJSK_SP_SP_EEENS5_IJSU_SV_SW_EEENS5_IJS1P_SX_SY_EEENST_IJLi3ELi4EEEElEELi128ELi128ELi16ELi2ELi4ELi4ELi1ENST_IJLi8ELi2EEEES1Z_NST_IJLi8ELi1ELi1ELi2EEEENST_IJLi2ELi1ELi128ELi1EEEENST_IJLi1ELi2ELi0ELi3EEEES22_NST_IJLi4ELi1ELi1ELi2EEEES22_NST_IJLi1ELi1ELi1ELi2EEEES20_S21_S22_S22_S23_S22_S24_NST_IJLi0ELi1ELi2ELi3ELi4ELi5EEEELi5ELi4EEEDF16_NS5_IJPKDF16_EEEDF16_S8_S8_S9_NSB_INS5_IJSE_SG_SI_SI_SI_SG_SG_SK_SK_SK_SG_SN_SN_SP_SP_SR_SG_SG_NSQ_INS5_IJiNS_17integral_constantIiLi128EEEEEELb0EEENSF_INS2A_IiLi2EEEEEEEENS5_IJSU_SV_SW_SX_SY_SZ_S10_S11_S12_S13_S14_S15_S16_S17_S18_S19_S1A_NST_IJLi23EEEES1J_NST_IJLi24EEEEEEENS5_IJS1C_S10_S11_S12_S13_S14_S1D_S1E_S1F_S1G_S1H_S17_S18_S1A_S19_S1I_S1J_NST_IJLi26EEEENST_IJLi27ELi28EEEENST_IJLi29EEEEEEENST_IJLi26ELi27ELi28ELi29EEEElEENSB_INS5_IJSR_SP_SP_SR_SG_SG_S2D_S2F_EEENS5_IJSU_SV_SW_SY_SX_SZ_S11_S10_EEENS5_IJS1P_SX_SY_S1Q_S11_S12_NST_IJLi9ELi10EEEES1D_EEENST_IJLi8ELi9ELi10ELi11EEEElEENS5_IJNSB_INS5_IJSK_SP_SP_NSQ_INS5_IJiS2E_NS2A_IiLi64EEEEEELb0EEES2Y_EEENS5_IJSU_SV_SW_SX_SY_EEENS5_IJS1P_SX_SY_NST_IJLi5ELi6ELi7EEEENST_IJLi8ELi9ELi10EEEEEEENST_IJLi5ELi6ELi7ELi8ELi9ELi10EEEElEEEEES35_NS_31BlockToCTileMap_M00_N00_M01_N01ILi128ELi128ES1Y_Lb0EEENS1_30ComputePtrOffsetOfStridedBatchILi1ELi1ELi1EvEELb0ELb0EEEvPKT0_S3D_T1_PT2_T3_T4_T5_iT6_T7_T8_T9_T10_T11_.kd
    .uniform_work_group_size: 1
    .uses_dynamic_stack: false
    .vgpr_count:     120
    .vgpr_spill_count: 0
    .wavefront_size: 64
amdhsa.target:   amdgcn-amd-amdhsa--gfx906
amdhsa.version:
  - 1
  - 2
...

	.end_amdgpu_metadata
